;; amdgpu-corpus repo=ROCm/rocFFT kind=compiled arch=gfx1030 opt=O3
	.text
	.amdgcn_target "amdgcn-amd-amdhsa--gfx1030"
	.amdhsa_code_object_version 6
	.protected	bluestein_single_fwd_len845_dim1_dp_op_CI_CI ; -- Begin function bluestein_single_fwd_len845_dim1_dp_op_CI_CI
	.globl	bluestein_single_fwd_len845_dim1_dp_op_CI_CI
	.p2align	8
	.type	bluestein_single_fwd_len845_dim1_dp_op_CI_CI,@function
bluestein_single_fwd_len845_dim1_dp_op_CI_CI: ; @bluestein_single_fwd_len845_dim1_dp_op_CI_CI
; %bb.0:
	s_load_dwordx4 s[12:15], s[4:5], 0x28
	v_mul_u32_u24_e32 v1, 0x3f1, v0
	s_mov_b64 s[50:51], s[2:3]
	s_mov_b64 s[48:49], s[0:1]
	s_add_u32 s48, s48, s7
	v_lshrrev_b32_e32 v1, 16, v1
	s_addc_u32 s49, s49, 0
	v_mad_u64_u32 v[208:209], null, s6, 3, v[1:2]
	v_mov_b32_e32 v209, 0
                                        ; kill: def $vgpr2 killed $sgpr0 killed $exec
	s_mov_b32 s0, exec_lo
	s_waitcnt lgkmcnt(0)
	v_cmpx_gt_u64_e64 s[12:13], v[208:209]
	s_cbranch_execz .LBB0_10
; %bb.1:
	s_clause 0x1
	s_load_dwordx4 s[8:11], s[4:5], 0x18
	s_load_dwordx4 s[0:3], s[4:5], 0x0
	v_mul_lo_u16 v1, 0x41, v1
	s_mov_b32 s26, 0x42a4c3d2
	s_mov_b32 s30, 0x66966769
	;; [unrolled: 1-line block ×4, first 2 shown]
	v_sub_nc_u16 v36, v0, v1
	s_mov_b32 s23, 0xbfddbe06
	s_mov_b32 s22, 0x4267c47c
	;; [unrolled: 1-line block ×4, first 2 shown]
	v_and_b32_e32 v45, 0xffff, v36
	s_mov_b32 s21, 0xbfe5384d
	s_mov_b32 s29, 0xbfcea1e5
	;; [unrolled: 1-line block ×7, first 2 shown]
	s_waitcnt lgkmcnt(0)
	s_load_dwordx4 s[16:19], s[8:9], 0x0
	s_mov_b32 s36, s20
	s_mov_b32 s35, 0x3fefc445
	;; [unrolled: 1-line block ×4, first 2 shown]
	s_load_dwordx2 s[4:5], s[4:5], 0x38
                                        ; implicit-def: $vgpr152_vgpr153
                                        ; implicit-def: $vgpr156_vgpr157
	s_waitcnt lgkmcnt(0)
	v_mad_u64_u32 v[0:1], null, s18, v208, 0
	v_mad_u64_u32 v[2:3], null, s16, v45, 0
	s_mul_i32 s6, s17, 0x410
	s_mul_hi_u32 s8, s16, 0x410
	s_mul_i32 s7, s16, 0x410
	s_add_i32 s6, s8, s6
	v_mad_u64_u32 v[4:5], null, s19, v208, v[1:2]
	s_mov_b32 s18, 0x2ef20147
	s_mov_b32 s19, 0xbfedeba7
	;; [unrolled: 1-line block ×3, first 2 shown]
	v_mad_u64_u32 v[5:6], null, s17, v45, v[3:4]
	v_mov_b32_e32 v1, v4
	s_mov_b32 s16, 0xd0032e0c
	s_mov_b32 s17, 0xbfe7f3cc
	v_lshlrev_b64 v[0:1], 4, v[0:1]
	v_mov_b32_e32 v3, v5
	v_add_co_u32 v4, vcc_lo, s14, v0
	v_lshlrev_b64 v[2:3], 4, v[2:3]
	v_add_co_ci_u32_e32 v1, vcc_lo, s15, v1, vcc_lo
	v_lshlrev_b32_e32 v0, 4, v45
	s_mov_b32 s14, 0xe00740e9
	s_mov_b32 s15, 0x3fec55a7
	v_add_co_u32 v5, vcc_lo, v4, v2
	v_add_co_ci_u32_e32 v6, vcc_lo, v1, v3, vcc_lo
	global_load_dwordx4 v[46:49], v0, s[0:1]
	global_load_dwordx4 v[1:4], v[5:6], off
	v_add_co_u32 v9, vcc_lo, v5, s7
	v_add_co_ci_u32_e32 v10, vcc_lo, s6, v6, vcc_lo
	global_load_dwordx4 v[50:53], v0, s[0:1] offset:1040
	global_load_dwordx4 v[5:8], v[9:10], off
	v_add_co_u32 v202, s0, s0, v0
	v_add_co_ci_u32_e64 v203, null, s1, 0, s0
	s_mov_b32 s0, 0xebaa3ed8
	v_add_co_u32 v13, vcc_lo, 0x800, v202
	v_add_co_ci_u32_e32 v14, vcc_lo, 0, v203, vcc_lo
	v_add_co_u32 v15, vcc_lo, v9, s7
	v_add_co_ci_u32_e32 v16, vcc_lo, s6, v10, vcc_lo
	global_load_dwordx4 v[62:65], v[13:14], off offset:32
	global_load_dwordx4 v[9:12], v[15:16], off
	v_add_co_u32 v17, vcc_lo, v15, s7
	v_add_co_ci_u32_e32 v18, vcc_lo, s6, v16, vcc_lo
	v_add_co_u32 v21, vcc_lo, 0x1000, v202
	v_add_co_ci_u32_e32 v22, vcc_lo, 0, v203, vcc_lo
	;; [unrolled: 2-line block ×3, first 2 shown]
	global_load_dwordx4 v[58:61], v[13:14], off offset:1072
	global_load_dwordx4 v[13:16], v[17:18], off
	v_add_co_u32 v25, vcc_lo, v23, s7
	v_add_co_ci_u32_e32 v26, vcc_lo, s6, v24, vcc_lo
	global_load_dwordx4 v[66:69], v[21:22], off offset:64
	global_load_dwordx4 v[17:20], v[23:24], off
	v_add_co_u32 v29, vcc_lo, v25, s7
	v_add_co_ci_u32_e32 v30, vcc_lo, s6, v26, vcc_lo
	v_add_co_u32 v31, vcc_lo, 0x1800, v202
	v_add_co_ci_u32_e32 v32, vcc_lo, 0, v203, vcc_lo
	global_load_dwordx4 v[41:44], v[21:22], off offset:1104
	global_load_dwordx4 v[21:24], v[25:26], off
	global_load_dwordx4 v[25:28], v[29:30], off
	global_load_dwordx4 v[54:57], v[31:32], off offset:96
	s_mov_b32 s1, 0x3fbedb7d
	s_waitcnt vmcnt(12)
	v_mul_f64 v[33:34], v[3:4], v[48:49]
	v_mul_f64 v[37:38], v[1:2], v[48:49]
	s_waitcnt vmcnt(10)
	v_mul_f64 v[39:40], v[7:8], v[52:53]
	v_fma_f64 v[1:2], v[1:2], v[46:47], v[33:34]
	buffer_store_dword v46, off, s[48:51], 0 offset:36 ; 4-byte Folded Spill
	buffer_store_dword v47, off, s[48:51], 0 offset:40 ; 4-byte Folded Spill
	buffer_store_dword v48, off, s[48:51], 0 offset:44 ; 4-byte Folded Spill
	buffer_store_dword v49, off, s[48:51], 0 offset:48 ; 4-byte Folded Spill
	v_mul_f64 v[33:34], v[5:6], v[52:53]
	v_fma_f64 v[5:6], v[5:6], v[50:51], v[39:40]
	buffer_store_dword v50, off, s[48:51], 0 offset:52 ; 4-byte Folded Spill
	buffer_store_dword v51, off, s[48:51], 0 offset:56 ; 4-byte Folded Spill
	;; [unrolled: 1-line block ×4, first 2 shown]
	s_waitcnt vmcnt(6)
	v_mul_f64 v[39:40], v[15:16], v[60:61]
	v_fma_f64 v[3:4], v[3:4], v[46:47], -v[37:38]
	v_mul_f64 v[37:38], v[11:12], v[64:65]
	v_fma_f64 v[7:8], v[7:8], v[50:51], -v[33:34]
	v_mul_f64 v[33:34], v[9:10], v[64:65]
	v_fma_f64 v[9:10], v[9:10], v[62:63], v[37:38]
	buffer_store_dword v62, off, s[48:51], 0 offset:116 ; 4-byte Folded Spill
	buffer_store_dword v63, off, s[48:51], 0 offset:120 ; 4-byte Folded Spill
	;; [unrolled: 1-line block ×4, first 2 shown]
	s_waitcnt vmcnt(4)
	v_mul_f64 v[37:38], v[19:20], v[68:69]
	v_fma_f64 v[11:12], v[11:12], v[62:63], -v[33:34]
	v_mul_f64 v[33:34], v[13:14], v[60:61]
	v_fma_f64 v[13:14], v[13:14], v[58:59], v[39:40]
	buffer_store_dword v58, off, s[48:51], 0 offset:100 ; 4-byte Folded Spill
	buffer_store_dword v59, off, s[48:51], 0 offset:104 ; 4-byte Folded Spill
	;; [unrolled: 1-line block ×4, first 2 shown]
	s_waitcnt vmcnt(2)
	v_mul_f64 v[39:40], v[23:24], v[43:44]
	v_fma_f64 v[15:16], v[15:16], v[58:59], -v[33:34]
	v_mul_f64 v[33:34], v[17:18], v[68:69]
	v_fma_f64 v[17:18], v[17:18], v[66:67], v[37:38]
	buffer_store_dword v66, off, s[48:51], 0 offset:132 ; 4-byte Folded Spill
	buffer_store_dword v67, off, s[48:51], 0 offset:136 ; 4-byte Folded Spill
	;; [unrolled: 1-line block ×4, first 2 shown]
	global_load_dwordx4 v[46:49], v[31:32], off offset:1136
	s_waitcnt vmcnt(1)
	v_mul_f64 v[31:32], v[27:28], v[56:57]
	v_add_co_u32 v37, vcc_lo, v29, s7
	v_add_co_ci_u32_e32 v38, vcc_lo, s6, v30, vcc_lo
	v_fma_f64 v[19:20], v[19:20], v[66:67], -v[33:34]
	v_mul_f64 v[33:34], v[21:22], v[43:44]
	v_fma_f64 v[21:22], v[21:22], v[41:42], v[39:40]
	buffer_store_dword v41, off, s[48:51], 0 offset:20 ; 4-byte Folded Spill
	buffer_store_dword v42, off, s[48:51], 0 offset:24 ; 4-byte Folded Spill
	buffer_store_dword v43, off, s[48:51], 0 offset:28 ; 4-byte Folded Spill
	buffer_store_dword v44, off, s[48:51], 0 offset:32 ; 4-byte Folded Spill
	v_fma_f64 v[23:24], v[23:24], v[41:42], -v[33:34]
	v_mul_f64 v[33:34], v[25:26], v[56:57]
	v_fma_f64 v[25:26], v[25:26], v[54:55], v[31:32]
	buffer_store_dword v54, off, s[48:51], 0 offset:68 ; 4-byte Folded Spill
	buffer_store_dword v55, off, s[48:51], 0 offset:72 ; 4-byte Folded Spill
	;; [unrolled: 1-line block ×4, first 2 shown]
	global_load_dwordx4 v[29:32], v[37:38], off
	v_fma_f64 v[27:28], v[27:28], v[54:55], -v[33:34]
	s_waitcnt vmcnt(0)
	v_mul_f64 v[33:34], v[31:32], v[48:49]
	v_mul_f64 v[39:40], v[29:30], v[48:49]
	v_fma_f64 v[29:30], v[29:30], v[46:47], v[33:34]
	buffer_store_dword v46, off, s[48:51], 0 offset:84 ; 4-byte Folded Spill
	buffer_store_dword v47, off, s[48:51], 0 offset:88 ; 4-byte Folded Spill
	;; [unrolled: 1-line block ×4, first 2 shown]
	v_add_co_u32 v33, vcc_lo, v37, s7
	v_add_co_ci_u32_e32 v34, vcc_lo, s6, v38, vcc_lo
	v_add_co_u32 v37, vcc_lo, 0x2000, v202
	v_add_co_ci_u32_e32 v38, vcc_lo, 0, v203, vcc_lo
	v_fma_f64 v[31:32], v[31:32], v[46:47], -v[39:40]
	s_clause 0x1
	global_load_dwordx4 v[46:49], v[37:38], off offset:128
	global_load_dwordx4 v[58:61], v[37:38], off offset:1168
	global_load_dwordx4 v[37:40], v[33:34], off
	v_add_co_u32 v33, vcc_lo, v33, s7
	v_add_co_ci_u32_e32 v34, vcc_lo, s6, v34, vcc_lo
	s_waitcnt vmcnt(0)
	v_mul_f64 v[41:42], v[39:40], v[48:49]
	v_mul_f64 v[43:44], v[37:38], v[48:49]
	v_fma_f64 v[52:53], v[37:38], v[46:47], v[41:42]
	buffer_store_dword v46, off, s[48:51], 0 offset:148 ; 4-byte Folded Spill
	buffer_store_dword v47, off, s[48:51], 0 offset:152 ; 4-byte Folded Spill
	;; [unrolled: 1-line block ×4, first 2 shown]
	v_fma_f64 v[54:55], v[39:40], v[46:47], -v[43:44]
	global_load_dwordx4 v[37:40], v[33:34], off
	v_add_co_u32 v33, vcc_lo, v33, s7
	v_add_co_ci_u32_e32 v34, vcc_lo, s6, v34, vcc_lo
	s_waitcnt vmcnt(0)
	v_mul_f64 v[41:42], v[39:40], v[60:61]
	v_mul_f64 v[43:44], v[37:38], v[60:61]
	v_fma_f64 v[56:57], v[37:38], v[58:59], v[41:42]
	buffer_store_dword v58, off, s[48:51], 0 offset:164 ; 4-byte Folded Spill
	buffer_store_dword v59, off, s[48:51], 0 offset:168 ; 4-byte Folded Spill
	;; [unrolled: 1-line block ×4, first 2 shown]
	v_add_co_u32 v37, vcc_lo, 0x2800, v202
	v_add_co_ci_u32_e32 v38, vcc_lo, 0, v203, vcc_lo
	v_fma_f64 v[58:59], v[39:40], v[58:59], -v[43:44]
	s_clause 0x1
	global_load_dwordx4 v[39:42], v[37:38], off offset:160
	global_load_dwordx4 v[68:71], v[37:38], off offset:1200
	global_load_dwordx4 v[48:51], v[33:34], off
	v_add_co_u32 v33, vcc_lo, v33, s7
	v_add_co_ci_u32_e32 v34, vcc_lo, s6, v34, vcc_lo
	s_waitcnt vmcnt(0)
	v_mul_f64 v[37:38], v[50:51], v[41:42]
	v_mul_f64 v[62:63], v[48:49], v[41:42]
	v_fma_f64 v[60:61], v[48:49], v[39:40], v[37:38]
	buffer_store_dword v39, off, s[48:51], 0 offset:180 ; 4-byte Folded Spill
	buffer_store_dword v40, off, s[48:51], 0 offset:184 ; 4-byte Folded Spill
	;; [unrolled: 1-line block ×4, first 2 shown]
	v_fma_f64 v[62:63], v[50:51], v[39:40], -v[62:63]
	global_load_dwordx4 v[48:51], v[33:34], off
	v_add_co_u32 v33, vcc_lo, v33, s7
	v_add_co_ci_u32_e32 v34, vcc_lo, s6, v34, vcc_lo
	s_mov_b32 s6, 0xb2365da1
	s_mov_b32 s7, 0xbfd6b1d8
	s_waitcnt vmcnt(0)
	v_mul_f64 v[37:38], v[50:51], v[70:71]
	v_mul_f64 v[66:67], v[48:49], v[70:71]
	v_fma_f64 v[64:65], v[48:49], v[68:69], v[37:38]
	buffer_store_dword v68, off, s[48:51], 0 offset:196 ; 4-byte Folded Spill
	buffer_store_dword v69, off, s[48:51], 0 offset:200 ; 4-byte Folded Spill
	;; [unrolled: 1-line block ×4, first 2 shown]
	v_add_co_u32 v37, vcc_lo, 0x3000, v202
	v_add_co_ci_u32_e32 v38, vcc_lo, 0, v203, vcc_lo
	v_cmp_gt_u16_e32 vcc_lo, 39, v36
	v_fma_f64 v[66:67], v[50:51], v[68:69], -v[66:67]
	global_load_dwordx4 v[68:71], v[33:34], off
	buffer_store_dword v37, off, s[48:51], 0 offset:236 ; 4-byte Folded Spill
	buffer_store_dword v38, off, s[48:51], 0 offset:240 ; 4-byte Folded Spill
	global_load_dwordx4 v[39:42], v[37:38], off offset:192
	s_waitcnt vmcnt(0)
	v_mul_f64 v[33:34], v[70:71], v[41:42]
	v_mul_f64 v[37:38], v[68:69], v[41:42]
	v_fma_f64 v[68:69], v[68:69], v[39:40], v[33:34]
	buffer_store_dword v39, off, s[48:51], 0 offset:212 ; 4-byte Folded Spill
	buffer_store_dword v40, off, s[48:51], 0 offset:216 ; 4-byte Folded Spill
	;; [unrolled: 1-line block ×4, first 2 shown]
	v_mul_hi_u32 v33, 0xaaaaaaab, v208
	v_lshrrev_b32_e32 v33, 1, v33
	v_lshl_add_u32 v33, v33, 1, v33
	v_sub_nc_u32_e32 v33, v208, v33
	v_mul_u32_u24_e32 v33, 0x34d, v33
	v_lshlrev_b32_e32 v51, 4, v33
	v_add_nc_u32_e32 v255, v0, v51
	ds_write_b128 v255, v[1:4]
	ds_write_b128 v255, v[5:8] offset:1040
	ds_write_b128 v255, v[9:12] offset:2080
	ds_write_b128 v255, v[13:16] offset:3120
	ds_write_b128 v255, v[17:20] offset:4160
	ds_write_b128 v255, v[21:24] offset:5200
	ds_write_b128 v255, v[25:28] offset:6240
	ds_write_b128 v255, v[29:32] offset:7280
	ds_write_b128 v255, v[52:55] offset:8320
	ds_write_b128 v255, v[56:59] offset:9360
	s_load_dwordx4 s[8:11], s[10:11], 0x0
	v_fma_f64 v[70:71], v[70:71], v[39:40], -v[37:38]
	ds_write_b128 v255, v[60:63] offset:10400
	ds_write_b128 v255, v[64:67] offset:11440
	ds_write_b128 v255, v[68:71] offset:12480
	s_waitcnt lgkmcnt(0)
	s_waitcnt_vscnt null, 0x0
	s_barrier
	buffer_gl0_inv
	ds_read_b128 v[52:55], v255
	ds_read_b128 v[56:59], v255 offset:1040
	ds_read_b128 v[60:63], v255 offset:2080
	;; [unrolled: 1-line block ×9, first 2 shown]
	s_waitcnt lgkmcnt(8)
	v_add_f64 v[0:1], v[52:53], v[56:57]
	v_add_f64 v[2:3], v[54:55], v[58:59]
	s_waitcnt lgkmcnt(2)
	v_add_f64 v[8:9], v[76:77], -v[80:81]
	v_add_f64 v[14:15], v[78:79], -v[82:83]
	v_add_f64 v[0:1], v[0:1], v[60:61]
	v_add_f64 v[2:3], v[2:3], v[62:63]
	;; [unrolled: 1-line block ×14, first 2 shown]
	s_waitcnt lgkmcnt(1)
	v_add_f64 v[4:5], v[72:73], v[10:11]
	v_add_f64 v[6:7], v[74:75], v[12:13]
	v_add_f64 v[72:73], v[72:73], -v[10:11]
	v_add_f64 v[74:75], v[74:75], -v[12:13]
	v_add_f64 v[20:21], v[20:21], v[10:11]
	v_add_f64 v[22:23], v[22:23], v[12:13]
	s_waitcnt lgkmcnt(0)
	v_add_f64 v[10:11], v[68:69], v[16:17]
	v_add_f64 v[12:13], v[70:71], v[18:19]
	v_add_f64 v[68:69], v[68:69], -v[16:17]
	v_add_f64 v[70:71], v[70:71], -v[18:19]
	v_add_f64 v[28:29], v[20:21], v[16:17]
	v_add_f64 v[30:31], v[22:23], v[18:19]
	ds_read_b128 v[20:23], v255 offset:10400
	ds_read_b128 v[24:27], v255 offset:11440
	s_waitcnt lgkmcnt(1)
	v_add_f64 v[16:17], v[64:65], v[20:21]
	v_add_f64 v[28:29], v[28:29], v[20:21]
	;; [unrolled: 1-line block ×4, first 2 shown]
	v_add_f64 v[64:65], v[64:65], -v[20:21]
	v_add_f64 v[66:67], v[66:67], -v[22:23]
	s_waitcnt lgkmcnt(0)
	v_add_f64 v[20:21], v[60:61], v[24:25]
	v_add_f64 v[22:23], v[62:63], v[26:27]
	v_add_f64 v[76:77], v[60:61], -v[24:25]
	v_add_f64 v[78:79], v[62:63], -v[26:27]
	v_add_f64 v[28:29], v[28:29], v[24:25]
	v_add_f64 v[30:31], v[30:31], v[26:27]
	ds_read_b128 v[24:27], v255 offset:12480
	s_waitcnt lgkmcnt(0)
	s_barrier
	buffer_gl0_inv
	v_add_f64 v[32:33], v[58:59], -v[26:27]
	v_add_f64 v[34:35], v[56:57], v[24:25]
	v_add_f64 v[37:38], v[58:59], v[26:27]
	v_add_f64 v[60:61], v[56:57], -v[24:25]
	v_add_f64 v[56:57], v[28:29], v[24:25]
	v_add_f64 v[58:59], v[30:31], v[26:27]
	v_mul_f64 v[24:25], v[32:33], s[22:23]
	v_mul_f64 v[26:27], v[32:33], s[26:27]
	;; [unrolled: 1-line block ×9, first 2 shown]
	v_fma_f64 v[80:81], v[34:35], s[14:15], -v[24:25]
	v_fma_f64 v[24:25], v[34:35], s[14:15], v[24:25]
	v_fma_f64 v[82:83], v[34:35], s[12:13], -v[26:27]
	v_fma_f64 v[26:27], v[34:35], s[12:13], v[26:27]
	;; [unrolled: 2-line block ×6, first 2 shown]
	v_mul_f64 v[32:33], v[60:61], s[22:23]
	v_mul_f64 v[34:35], v[60:61], s[26:27]
	v_mul_f64 v[60:61], v[60:61], s[28:29]
	v_fma_f64 v[104:105], v[37:38], s[0:1], v[94:95]
	v_fma_f64 v[94:95], v[37:38], s[0:1], -v[94:95]
	v_fma_f64 v[106:107], v[37:38], s[6:7], v[96:97]
	v_fma_f64 v[96:97], v[37:38], s[6:7], -v[96:97]
	;; [unrolled: 2-line block ×3, first 2 shown]
	s_mov_b32 s23, 0x3fddbe06
	v_add_f64 v[112:113], v[52:53], v[24:25]
	v_add_f64 v[116:117], v[52:53], v[82:83]
	;; [unrolled: 1-line block ×9, first 2 shown]
	v_fma_f64 v[100:101], v[37:38], s[14:15], v[32:33]
	v_fma_f64 v[32:33], v[37:38], s[14:15], -v[32:33]
	v_fma_f64 v[102:103], v[37:38], s[12:13], v[34:35]
	v_fma_f64 v[34:35], v[37:38], s[12:13], -v[34:35]
	;; [unrolled: 2-line block ×3, first 2 shown]
	v_add_f64 v[60:61], v[52:53], v[80:81]
	v_mul_f64 v[62:63], v[66:67], s[30:31]
	v_add_f64 v[104:105], v[54:55], v[104:105]
	v_add_f64 v[94:95], v[54:55], v[94:95]
	;; [unrolled: 1-line block ×11, first 2 shown]
	v_mul_f64 v[37:38], v[78:79], s[26:27]
	v_add_f64 v[30:31], v[52:53], v[88:89]
	v_fma_f64 v[88:89], v[16:17], s[0:1], -v[62:63]
	v_add_f64 v[32:33], v[54:55], v[96:97]
	v_add_f64 v[80:81], v[54:55], v[110:111]
	v_fma_f64 v[62:63], v[16:17], s[0:1], v[62:63]
	v_fma_f64 v[52:53], v[20:21], s[12:13], -v[37:38]
	v_fma_f64 v[37:38], v[20:21], s[12:13], v[37:38]
	v_add_f64 v[52:53], v[52:53], v[60:61]
	v_mul_f64 v[60:61], v[76:77], s[26:27]
	v_add_f64 v[37:38], v[37:38], v[112:113]
	v_add_f64 v[52:53], v[88:89], v[52:53]
	v_fma_f64 v[54:55], v[22:23], s[12:13], v[60:61]
	v_mul_f64 v[88:89], v[64:65], s[30:31]
	v_fma_f64 v[60:61], v[22:23], s[12:13], -v[60:61]
	v_add_f64 v[37:38], v[62:63], v[37:38]
	v_add_f64 v[54:55], v[54:55], v[100:101]
	v_fma_f64 v[90:91], v[18:19], s[0:1], v[88:89]
	v_add_f64 v[60:61], v[60:61], v[114:115]
	v_fma_f64 v[62:63], v[18:19], s[0:1], -v[88:89]
	v_add_f64 v[54:55], v[90:91], v[54:55]
	v_mul_f64 v[90:91], v[70:71], s[18:19]
	v_add_f64 v[60:61], v[62:63], v[60:61]
	v_fma_f64 v[92:93], v[10:11], s[6:7], -v[90:91]
	v_fma_f64 v[62:63], v[10:11], s[6:7], v[90:91]
	v_mul_f64 v[90:91], v[66:67], s[28:29]
	v_add_f64 v[52:53], v[92:93], v[52:53]
	v_mul_f64 v[92:93], v[68:69], s[18:19]
	v_add_f64 v[37:38], v[62:63], v[37:38]
	v_fma_f64 v[96:97], v[12:13], s[6:7], v[92:93]
	v_fma_f64 v[62:63], v[12:13], s[6:7], -v[92:93]
	v_fma_f64 v[92:93], v[16:17], s[24:25], -v[90:91]
	v_fma_f64 v[90:91], v[16:17], s[24:25], v[90:91]
	v_add_f64 v[54:55], v[96:97], v[54:55]
	v_mul_f64 v[96:97], v[74:75], s[20:21]
	v_add_f64 v[60:61], v[62:63], v[60:61]
	v_fma_f64 v[98:99], v[4:5], s[16:17], -v[96:97]
	v_fma_f64 v[62:63], v[4:5], s[16:17], v[96:97]
	v_add_f64 v[52:53], v[98:99], v[52:53]
	v_mul_f64 v[98:99], v[72:73], s[20:21]
	v_add_f64 v[37:38], v[62:63], v[37:38]
	v_fma_f64 v[100:101], v[6:7], s[16:17], v[98:99]
	v_fma_f64 v[62:63], v[6:7], s[16:17], -v[98:99]
	v_add_f64 v[54:55], v[100:101], v[54:55]
	v_mul_f64 v[100:101], v[14:15], s[28:29]
	v_add_f64 v[60:61], v[62:63], v[60:61]
	v_fma_f64 v[102:103], v[2:3], s[24:25], -v[100:101]
	v_fma_f64 v[62:63], v[2:3], s[24:25], v[100:101]
	v_add_f64 v[52:53], v[102:103], v[52:53]
	v_mul_f64 v[102:103], v[8:9], s[28:29]
	v_add_f64 v[100:101], v[62:63], v[37:38]
	v_mul_f64 v[37:38], v[78:79], s[18:19]
	v_fma_f64 v[88:89], v[0:1], s[24:25], -v[102:103]
	v_fma_f64 v[106:107], v[0:1], s[24:25], v[102:103]
	v_add_f64 v[102:103], v[88:89], v[60:61]
	v_fma_f64 v[60:61], v[20:21], s[6:7], -v[37:38]
	v_mul_f64 v[88:89], v[76:77], s[18:19]
	v_add_f64 v[54:55], v[106:107], v[54:55]
	v_fma_f64 v[37:38], v[20:21], s[6:7], v[37:38]
	v_add_f64 v[60:61], v[60:61], v[116:117]
	v_fma_f64 v[62:63], v[22:23], s[6:7], v[88:89]
	v_fma_f64 v[88:89], v[22:23], s[6:7], -v[88:89]
	v_add_f64 v[37:38], v[37:38], v[120:121]
	v_add_f64 v[60:61], v[92:93], v[60:61]
	v_mul_f64 v[92:93], v[64:65], s[28:29]
	v_add_f64 v[62:63], v[62:63], v[118:119]
	v_add_f64 v[88:89], v[88:89], v[122:123]
	;; [unrolled: 1-line block ×3, first 2 shown]
	v_fma_f64 v[96:97], v[18:19], s[24:25], v[92:93]
	v_fma_f64 v[90:91], v[18:19], s[24:25], -v[92:93]
	v_add_f64 v[62:63], v[96:97], v[62:63]
	v_mul_f64 v[96:97], v[70:71], s[36:37]
	v_add_f64 v[88:89], v[90:91], v[88:89]
	v_fma_f64 v[98:99], v[10:11], s[16:17], -v[96:97]
	v_fma_f64 v[90:91], v[10:11], s[16:17], v[96:97]
	v_mul_f64 v[96:97], v[66:67], s[38:39]
	v_add_f64 v[60:61], v[98:99], v[60:61]
	v_mul_f64 v[98:99], v[68:69], s[36:37]
	v_add_f64 v[37:38], v[90:91], v[37:38]
	v_fma_f64 v[106:107], v[12:13], s[16:17], v[98:99]
	v_fma_f64 v[90:91], v[12:13], s[16:17], -v[98:99]
	v_fma_f64 v[98:99], v[16:17], s[6:7], -v[96:97]
	v_add_f64 v[62:63], v[106:107], v[62:63]
	v_mul_f64 v[106:107], v[74:75], s[34:35]
	v_add_f64 v[88:89], v[90:91], v[88:89]
	v_fma_f64 v[108:109], v[4:5], s[0:1], -v[106:107]
	v_fma_f64 v[90:91], v[4:5], s[0:1], v[106:107]
	v_add_f64 v[60:61], v[108:109], v[60:61]
	v_mul_f64 v[108:109], v[72:73], s[34:35]
	v_add_f64 v[37:38], v[90:91], v[37:38]
	v_fma_f64 v[110:111], v[6:7], s[0:1], v[108:109]
	v_fma_f64 v[90:91], v[6:7], s[0:1], -v[108:109]
	v_add_f64 v[62:63], v[110:111], v[62:63]
	v_mul_f64 v[110:111], v[14:15], s[22:23]
	v_add_f64 v[88:89], v[90:91], v[88:89]
	v_fma_f64 v[112:113], v[2:3], s[14:15], -v[110:111]
	v_fma_f64 v[90:91], v[2:3], s[14:15], v[110:111]
	v_add_f64 v[60:61], v[112:113], v[60:61]
	v_mul_f64 v[112:113], v[8:9], s[22:23]
	v_add_f64 v[108:109], v[90:91], v[37:38]
	v_mul_f64 v[37:38], v[78:79], s[28:29]
	v_fma_f64 v[92:93], v[0:1], s[14:15], -v[112:113]
	v_fma_f64 v[114:115], v[0:1], s[14:15], v[112:113]
	v_add_f64 v[110:111], v[92:93], v[88:89]
	v_fma_f64 v[88:89], v[20:21], s[24:25], -v[37:38]
	v_mul_f64 v[92:93], v[76:77], s[28:29]
	v_fma_f64 v[37:38], v[20:21], s[24:25], v[37:38]
	v_add_f64 v[62:63], v[114:115], v[62:63]
	s_mov_b32 s29, 0x3fea55e2
	v_add_f64 v[88:89], v[88:89], v[124:125]
	v_fma_f64 v[90:91], v[22:23], s[24:25], v[92:93]
	v_fma_f64 v[92:93], v[22:23], s[24:25], -v[92:93]
	v_add_f64 v[37:38], v[37:38], v[126:127]
	v_add_f64 v[88:89], v[98:99], v[88:89]
	v_mul_f64 v[98:99], v[64:65], s[38:39]
	v_add_f64 v[90:91], v[90:91], v[104:105]
	v_add_f64 v[92:93], v[92:93], v[94:95]
	v_fma_f64 v[94:95], v[16:17], s[6:7], v[96:97]
	v_fma_f64 v[104:105], v[18:19], s[6:7], v[98:99]
	v_add_f64 v[37:38], v[94:95], v[37:38]
	v_fma_f64 v[94:95], v[18:19], s[6:7], -v[98:99]
	v_mul_f64 v[98:99], v[66:67], s[22:23]
	v_add_f64 v[90:91], v[104:105], v[90:91]
	v_mul_f64 v[104:105], v[70:71], s[22:23]
	v_add_f64 v[92:93], v[94:95], v[92:93]
	v_fma_f64 v[106:107], v[10:11], s[14:15], -v[104:105]
	v_fma_f64 v[94:95], v[10:11], s[14:15], v[104:105]
	v_add_f64 v[88:89], v[106:107], v[88:89]
	v_mul_f64 v[106:107], v[68:69], s[22:23]
	v_add_f64 v[37:38], v[94:95], v[37:38]
	v_fma_f64 v[112:113], v[12:13], s[14:15], v[106:107]
	v_fma_f64 v[94:95], v[12:13], s[14:15], -v[106:107]
	v_add_f64 v[90:91], v[112:113], v[90:91]
	v_mul_f64 v[112:113], v[74:75], s[26:27]
	v_add_f64 v[92:93], v[94:95], v[92:93]
	v_fma_f64 v[114:115], v[4:5], s[12:13], -v[112:113]
	v_fma_f64 v[94:95], v[4:5], s[12:13], v[112:113]
	v_fma_f64 v[112:113], v[16:17], s[14:15], -v[98:99]
	v_add_f64 v[88:89], v[114:115], v[88:89]
	v_mul_f64 v[114:115], v[72:73], s[26:27]
	v_add_f64 v[37:38], v[94:95], v[37:38]
	v_fma_f64 v[116:117], v[6:7], s[12:13], v[114:115]
	v_fma_f64 v[94:95], v[6:7], s[12:13], -v[114:115]
	v_add_f64 v[90:91], v[116:117], v[90:91]
	v_mul_f64 v[116:117], v[14:15], s[20:21]
	v_add_f64 v[92:93], v[94:95], v[92:93]
	v_fma_f64 v[118:119], v[2:3], s[16:17], -v[116:117]
	v_fma_f64 v[94:95], v[2:3], s[16:17], v[116:117]
	v_add_f64 v[88:89], v[118:119], v[88:89]
	v_mul_f64 v[118:119], v[8:9], s[20:21]
	v_add_f64 v[104:105], v[94:95], v[37:38]
	v_mul_f64 v[37:38], v[78:79], s[36:37]
	v_fma_f64 v[96:97], v[0:1], s[16:17], -v[118:119]
	v_fma_f64 v[120:121], v[0:1], s[16:17], v[118:119]
	v_add_f64 v[106:107], v[96:97], v[92:93]
	v_fma_f64 v[92:93], v[20:21], s[16:17], -v[37:38]
	v_mul_f64 v[96:97], v[76:77], s[36:37]
	v_fma_f64 v[37:38], v[20:21], s[16:17], v[37:38]
	v_add_f64 v[90:91], v[120:121], v[90:91]
	v_add_f64 v[92:93], v[92:93], v[128:129]
	v_fma_f64 v[94:95], v[22:23], s[16:17], v[96:97]
	v_add_f64 v[34:35], v[37:38], v[34:35]
	v_fma_f64 v[37:38], v[22:23], s[16:17], -v[96:97]
	v_add_f64 v[92:93], v[112:113], v[92:93]
	v_mul_f64 v[112:113], v[64:65], s[22:23]
	v_add_f64 v[94:95], v[94:95], v[130:131]
	v_add_f64 v[32:33], v[37:38], v[32:33]
	v_fma_f64 v[37:38], v[16:17], s[14:15], v[98:99]
	v_fma_f64 v[114:115], v[18:19], s[14:15], v[112:113]
	v_add_f64 v[34:35], v[37:38], v[34:35]
	v_fma_f64 v[37:38], v[18:19], s[14:15], -v[112:113]
	v_add_f64 v[94:95], v[114:115], v[94:95]
	v_mul_f64 v[114:115], v[70:71], s[30:31]
	v_add_f64 v[32:33], v[37:38], v[32:33]
	v_fma_f64 v[116:117], v[10:11], s[0:1], -v[114:115]
	v_fma_f64 v[37:38], v[10:11], s[0:1], v[114:115]
	v_add_f64 v[92:93], v[116:117], v[92:93]
	v_mul_f64 v[116:117], v[68:69], s[30:31]
	s_mov_b32 s31, 0x3fcea1e5
	s_mov_b32 s30, s28
	;; [unrolled: 1-line block ×3, first 2 shown]
	v_add_f64 v[34:35], v[37:38], v[34:35]
	v_fma_f64 v[118:119], v[12:13], s[0:1], v[116:117]
	v_fma_f64 v[37:38], v[12:13], s[0:1], -v[116:117]
	v_add_f64 v[94:95], v[118:119], v[94:95]
	v_mul_f64 v[118:119], v[74:75], s[30:31]
	v_add_f64 v[32:33], v[37:38], v[32:33]
	v_fma_f64 v[120:121], v[4:5], s[24:25], -v[118:119]
	v_fma_f64 v[37:38], v[4:5], s[24:25], v[118:119]
	v_add_f64 v[92:93], v[120:121], v[92:93]
	v_mul_f64 v[120:121], v[72:73], s[30:31]
	v_add_f64 v[34:35], v[37:38], v[34:35]
	v_fma_f64 v[122:123], v[6:7], s[24:25], v[120:121]
	v_fma_f64 v[37:38], v[6:7], s[24:25], -v[120:121]
	v_add_f64 v[94:95], v[122:123], v[94:95]
	v_mul_f64 v[122:123], v[14:15], s[28:29]
	v_add_f64 v[37:38], v[37:38], v[32:33]
	v_fma_f64 v[124:125], v[2:3], s[12:13], -v[122:123]
	v_fma_f64 v[32:33], v[2:3], s[12:13], v[122:123]
	v_add_f64 v[92:93], v[124:125], v[92:93]
	v_mul_f64 v[124:125], v[8:9], s[28:29]
	v_add_f64 v[32:33], v[32:33], v[34:35]
	v_fma_f64 v[96:97], v[0:1], s[12:13], -v[124:125]
	v_fma_f64 v[126:127], v[0:1], s[12:13], v[124:125]
	v_mul_f64 v[124:125], v[14:15], s[18:19]
	v_mul_f64 v[14:15], v[14:15], s[34:35]
	v_add_f64 v[34:35], v[96:97], v[37:38]
	v_mul_f64 v[37:38], v[78:79], s[34:35]
	v_add_f64 v[94:95], v[126:127], v[94:95]
	v_mul_f64 v[126:127], v[8:9], s[18:19]
	v_mul_f64 v[8:9], v[8:9], s[34:35]
	v_fma_f64 v[96:97], v[20:21], s[0:1], -v[37:38]
	v_fma_f64 v[37:38], v[20:21], s[0:1], v[37:38]
	v_add_f64 v[30:31], v[96:97], v[30:31]
	v_mul_f64 v[96:97], v[76:77], s[34:35]
	v_add_f64 v[37:38], v[37:38], v[86:87]
	v_mul_f64 v[76:77], v[76:77], s[22:23]
	v_fma_f64 v[98:99], v[22:23], s[0:1], v[96:97]
	v_fma_f64 v[86:87], v[22:23], s[0:1], -v[96:97]
	v_fma_f64 v[96:97], v[0:1], s[6:7], -v[126:127]
	v_add_f64 v[28:29], v[98:99], v[28:29]
	v_mul_f64 v[98:99], v[66:67], s[26:27]
	v_add_f64 v[84:85], v[86:87], v[84:85]
	v_fma_f64 v[112:113], v[16:17], s[12:13], -v[98:99]
	v_fma_f64 v[86:87], v[16:17], s[12:13], v[98:99]
	v_add_f64 v[30:31], v[112:113], v[30:31]
	v_mul_f64 v[112:113], v[64:65], s[26:27]
	v_add_f64 v[37:38], v[86:87], v[37:38]
	v_fma_f64 v[114:115], v[18:19], s[12:13], v[112:113]
	v_fma_f64 v[86:87], v[18:19], s[12:13], -v[112:113]
	v_add_f64 v[28:29], v[114:115], v[28:29]
	v_mul_f64 v[114:115], v[70:71], s[30:31]
	v_add_f64 v[84:85], v[86:87], v[84:85]
	v_mul_f64 v[70:71], v[70:71], s[28:29]
	v_fma_f64 v[116:117], v[10:11], s[24:25], -v[114:115]
	v_fma_f64 v[86:87], v[10:11], s[24:25], v[114:115]
	v_add_f64 v[30:31], v[116:117], v[30:31]
	v_mul_f64 v[116:117], v[68:69], s[30:31]
	v_add_f64 v[37:38], v[86:87], v[37:38]
	v_mul_f64 v[68:69], v[68:69], s[28:29]
	v_fma_f64 v[118:119], v[12:13], s[24:25], v[116:117]
	v_fma_f64 v[86:87], v[12:13], s[24:25], -v[116:117]
	v_add_f64 v[28:29], v[118:119], v[28:29]
	v_mul_f64 v[118:119], v[74:75], s[22:23]
	v_add_f64 v[84:85], v[86:87], v[84:85]
	v_mul_f64 v[74:75], v[74:75], s[18:19]
	v_fma_f64 v[120:121], v[4:5], s[14:15], -v[118:119]
	v_fma_f64 v[86:87], v[4:5], s[14:15], v[118:119]
	v_add_f64 v[30:31], v[120:121], v[30:31]
	v_mul_f64 v[120:121], v[72:73], s[22:23]
	v_add_f64 v[37:38], v[86:87], v[37:38]
	v_mul_f64 v[72:73], v[72:73], s[18:19]
	v_fma_f64 v[86:87], v[6:7], s[14:15], -v[120:121]
	v_fma_f64 v[122:123], v[6:7], s[14:15], v[120:121]
	v_add_f64 v[86:87], v[86:87], v[84:85]
	v_fma_f64 v[84:85], v[2:3], s[6:7], v[124:125]
	v_add_f64 v[122:123], v[122:123], v[28:29]
	v_fma_f64 v[28:29], v[2:3], s[6:7], -v[124:125]
	v_add_f64 v[86:87], v[96:97], v[86:87]
	v_add_f64 v[84:85], v[84:85], v[37:38]
	v_mul_f64 v[37:38], v[78:79], s[22:23]
	v_add_f64 v[28:29], v[28:29], v[30:31]
	v_fma_f64 v[30:31], v[0:1], s[6:7], v[126:127]
	v_fma_f64 v[78:79], v[20:21], s[14:15], -v[37:38]
	v_fma_f64 v[20:21], v[20:21], s[14:15], v[37:38]
	v_add_f64 v[30:31], v[30:31], v[122:123]
	v_add_f64 v[78:79], v[78:79], v[82:83]
	v_fma_f64 v[82:83], v[22:23], s[14:15], v[76:77]
	v_fma_f64 v[22:23], v[22:23], s[14:15], -v[76:77]
	v_add_f64 v[20:21], v[20:21], v[24:25]
	v_add_f64 v[80:81], v[82:83], v[80:81]
	v_mul_f64 v[82:83], v[66:67], s[20:21]
	v_add_f64 v[22:23], v[22:23], v[26:27]
	v_fma_f64 v[66:67], v[16:17], s[16:17], -v[82:83]
	v_fma_f64 v[16:17], v[16:17], s[16:17], v[82:83]
	v_add_f64 v[66:67], v[66:67], v[78:79]
	v_mul_f64 v[78:79], v[64:65], s[20:21]
	v_add_f64 v[16:17], v[16:17], v[20:21]
	v_fma_f64 v[64:65], v[18:19], s[16:17], v[78:79]
	v_fma_f64 v[18:19], v[18:19], s[16:17], -v[78:79]
	v_add_f64 v[64:65], v[64:65], v[80:81]
	v_fma_f64 v[80:81], v[10:11], s[12:13], -v[70:71]
	v_fma_f64 v[10:11], v[10:11], s[12:13], v[70:71]
	v_add_f64 v[18:19], v[18:19], v[22:23]
	v_add_f64 v[66:67], v[80:81], v[66:67]
	v_fma_f64 v[80:81], v[12:13], s[12:13], v[68:69]
	v_fma_f64 v[12:13], v[12:13], s[12:13], -v[68:69]
	v_add_f64 v[10:11], v[10:11], v[16:17]
	v_add_f64 v[64:65], v[80:81], v[64:65]
	v_fma_f64 v[80:81], v[4:5], s[6:7], -v[74:75]
	v_fma_f64 v[4:5], v[4:5], s[6:7], v[74:75]
	v_add_f64 v[12:13], v[12:13], v[18:19]
	v_add_f64 v[66:67], v[80:81], v[66:67]
	v_fma_f64 v[80:81], v[6:7], s[6:7], v[72:73]
	v_fma_f64 v[6:7], v[6:7], s[6:7], -v[72:73]
	v_add_f64 v[80:81], v[80:81], v[64:65]
	v_fma_f64 v[64:65], v[2:3], s[0:1], -v[14:15]
	v_fma_f64 v[2:3], v[2:3], s[0:1], v[14:15]
	v_add_f64 v[64:65], v[64:65], v[66:67]
	v_fma_f64 v[66:67], v[0:1], s[0:1], v[8:9]
	v_fma_f64 v[8:9], v[0:1], s[0:1], -v[8:9]
	v_add_f64 v[0:1], v[4:5], v[10:11]
	v_add_f64 v[4:5], v[6:7], v[12:13]
	;; [unrolled: 1-line block ×5, first 2 shown]
	v_mul_lo_u16 v4, v36, 13
	v_and_b32_e32 v4, 0xffff, v4
	v_lshl_add_u32 v209, v4, 4, v51
	ds_write_b128 v209, v[52:55] offset:16
	ds_write_b128 v209, v[60:63] offset:32
	;; [unrolled: 1-line block ×9, first 2 shown]
	ds_write_b128 v209, v[56:59]
	ds_write_b128 v209, v[104:107] offset:160
	ds_write_b128 v209, v[108:111] offset:176
	;; [unrolled: 1-line block ×3, first 2 shown]
	s_waitcnt lgkmcnt(0)
	s_barrier
	buffer_gl0_inv
	ds_read_b128 v[116:119], v255
	ds_read_b128 v[112:115], v255 offset:1040
	ds_read_b128 v[144:147], v255 offset:2704
	;; [unrolled: 1-line block ×9, first 2 shown]
	s_and_saveexec_b32 s0, vcc_lo
	s_cbranch_execz .LBB0_3
; %bb.2:
	ds_read_b128 v[104:107], v255 offset:2080
	ds_read_b128 v[108:111], v255 offset:4784
	;; [unrolled: 1-line block ×5, first 2 shown]
.LBB0_3:
	s_or_b32 exec_lo, exec_lo, s0
	v_and_b32_e32 v0, 0xff, v45
	v_add_nc_u16 v1, v45, 0x41
	v_add_nc_u16 v3, v45, 0x82
	v_mov_b32_e32 v5, 6
	s_mov_b32 s0, 0x134454ff
	v_mul_lo_u16 v0, 0x4f, v0
	v_and_b32_e32 v2, 0xff, v1
	s_mov_b32 s1, 0x3fee6f0e
	s_mov_b32 s15, 0xbfee6f0e
	;; [unrolled: 1-line block ×3, first 2 shown]
	v_lshrrev_b16 v40, 10, v0
	v_mul_lo_u16 v0, 0x4f, v2
	v_and_b32_e32 v2, 0xff, v3
	s_mov_b32 s6, 0x4755a5e
	s_mov_b32 s7, 0x3fe2cf23
	v_mul_lo_u16 v4, v40, 13
	v_lshrrev_b16 v36, 10, v0
	v_mul_lo_u16 v0, 0x4f, v2
	s_mov_b32 s13, 0xbfe2cf23
	s_mov_b32 s12, s6
	v_sub_nc_u16 v37, v45, v4
	v_mul_lo_u16 v2, v36, 13
	v_lshrrev_b16 v4, 10, v0
	s_mov_b32 s16, 0x372fe950
	s_mov_b32 s17, 0x3fd3c6ef
	v_lshlrev_b32_sdwa v0, v5, v37 dst_sel:DWORD dst_unused:UNUSED_PAD src0_sel:DWORD src1_sel:BYTE_0
	v_sub_nc_u16 v38, v1, v2
	v_mul_lo_u16 v1, v4, 13
	buffer_store_dword v4, off, s[48:51], 0 offset:228 ; 4-byte Folded Spill
	v_mov_b32_e32 v39, 0x41
	s_clause 0x1
	global_load_dwordx4 v[92:95], v0, s[2:3]
	global_load_dwordx4 v[88:91], v0, s[2:3] offset:16
	v_lshlrev_b32_sdwa v2, v5, v38 dst_sel:DWORD dst_unused:UNUSED_PAD src0_sel:DWORD src1_sel:BYTE_0
	v_sub_nc_u16 v1, v3, v1
	s_clause 0x3
	global_load_dwordx4 v[84:87], v0, s[2:3] offset:32
	global_load_dwordx4 v[96:99], v0, s[2:3] offset:48
	global_load_dwordx4 v[68:71], v2, s[2:3]
	global_load_dwordx4 v[76:79], v2, s[2:3] offset:16
	v_mul_u32_u24_sdwa v40, v40, v39 dst_sel:DWORD dst_unused:UNUSED_PAD src0_sel:WORD_0 src1_sel:DWORD
	v_lshlrev_b32_sdwa v0, v5, v1 dst_sel:DWORD dst_unused:UNUSED_PAD src0_sel:DWORD src1_sel:BYTE_0
	buffer_store_dword v1, off, s[48:51], 0 offset:232 ; 4-byte Folded Spill
	s_clause 0x5
	global_load_dwordx4 v[80:83], v2, s[2:3] offset:32
	global_load_dwordx4 v[72:75], v2, s[2:3] offset:48
	global_load_dwordx4 v[52:55], v0, s[2:3]
	global_load_dwordx4 v[64:67], v0, s[2:3] offset:16
	global_load_dwordx4 v[60:63], v0, s[2:3] offset:32
	global_load_dwordx4 v[56:59], v0, s[2:3] offset:48
	v_mul_u32_u24_sdwa v36, v36, v39 dst_sel:DWORD dst_unused:UNUSED_PAD src0_sel:WORD_0 src1_sel:DWORD
	v_add_nc_u32_sdwa v37, v40, v37 dst_sel:DWORD dst_unused:UNUSED_PAD src0_sel:DWORD src1_sel:BYTE_0
	v_add_nc_u32_sdwa v38, v36, v38 dst_sel:DWORD dst_unused:UNUSED_PAD src0_sel:DWORD src1_sel:BYTE_0
	v_lshl_add_u32 v36, v37, 4, v51
	s_waitcnt vmcnt(11) lgkmcnt(7)
	v_mul_f64 v[0:1], v[146:147], v[94:95]
	v_mul_f64 v[2:3], v[144:145], v[94:95]
	s_waitcnt vmcnt(10) lgkmcnt(5)
	v_mul_f64 v[4:5], v[150:151], v[90:91]
	v_mul_f64 v[6:7], v[148:149], v[90:91]
	;; [unrolled: 3-line block ×4, first 2 shown]
	s_waitcnt vmcnt(7)
	v_mul_f64 v[16:17], v[122:123], v[70:71]
	v_mul_f64 v[18:19], v[120:121], v[70:71]
	s_waitcnt vmcnt(6)
	v_mul_f64 v[20:21], v[126:127], v[78:79]
	v_mul_f64 v[22:23], v[124:125], v[78:79]
	;; [unrolled: 3-line block ×3, first 2 shown]
	s_waitcnt vmcnt(4) lgkmcnt(0)
	v_mul_f64 v[28:29], v[134:135], v[74:75]
	v_mul_f64 v[30:31], v[132:133], v[74:75]
	s_waitcnt vmcnt(3)
	v_mul_f64 v[32:33], v[110:111], v[54:55]
	v_mul_f64 v[34:35], v[108:109], v[54:55]
	s_waitcnt vmcnt(2)
	;; [unrolled: 3-line block ×4, first 2 shown]
	v_mul_f64 v[170:171], v[158:159], v[58:59]
	v_mul_f64 v[172:173], v[156:157], v[58:59]
	v_fma_f64 v[144:145], v[144:145], v[92:93], -v[0:1]
	v_fma_f64 v[146:147], v[146:147], v[92:93], v[2:3]
	v_fma_f64 v[148:149], v[148:149], v[88:89], -v[4:5]
	v_fma_f64 v[150:151], v[150:151], v[88:89], v[6:7]
	;; [unrolled: 2-line block ×3, first 2 shown]
	v_fma_f64 v[138:139], v[138:139], v[84:85], v[10:11]
	v_fma_f64 v[140:141], v[140:141], v[96:97], -v[12:13]
	v_fma_f64 v[16:17], v[120:121], v[68:69], -v[16:17]
	v_fma_f64 v[18:19], v[122:123], v[68:69], v[18:19]
	v_fma_f64 v[120:121], v[124:125], v[76:77], -v[20:21]
	v_fma_f64 v[122:123], v[126:127], v[76:77], v[22:23]
	;; [unrolled: 2-line block ×8, first 2 shown]
	v_add_f64 v[24:25], v[116:117], v[144:145]
	v_add_f64 v[28:29], v[144:145], -v[148:149]
	v_add_f64 v[26:27], v[148:149], v[136:137]
	v_add_f64 v[34:35], v[148:149], -v[144:145]
	;; [unrolled: 2-line block ×5, first 2 shown]
	v_add_f64 v[154:155], v[142:143], -v[138:139]
	v_add_f64 v[156:157], v[146:147], v[142:143]
	v_add_f64 v[162:163], v[112:113], v[16:17]
	;; [unrolled: 1-line block ×3, first 2 shown]
	v_add_f64 v[170:171], v[16:17], -v[120:121]
	v_add_f64 v[172:173], v[128:129], -v[124:125]
	v_add_f64 v[174:175], v[16:17], v[128:129]
	v_add_f64 v[182:183], v[122:123], v[126:127]
	;; [unrolled: 1-line block ×8, first 2 shown]
	v_add_f64 v[110:111], v[146:147], -v[142:143]
	v_add_f64 v[108:109], v[150:151], -v[138:139]
	;; [unrolled: 1-line block ×20, first 2 shown]
	v_fma_f64 v[226:227], v[26:27], -0.5, v[116:117]
	v_fma_f64 v[116:117], v[32:33], -0.5, v[116:117]
	;; [unrolled: 1-line block ×4, first 2 shown]
	v_add_f64 v[148:149], v[24:25], v[148:149]
	v_add_f64 v[156:157], v[28:29], v[30:31]
	;; [unrolled: 1-line block ×7, first 2 shown]
	v_fma_f64 v[164:165], v[164:165], -0.5, v[112:113]
	v_fma_f64 v[112:113], v[174:175], -0.5, v[112:113]
	;; [unrolled: 1-line block ×8, first 2 shown]
	v_add_f64 v[122:123], v[180:181], v[122:123]
	v_add_f64 v[198:199], v[12:13], -v[8:9]
	v_add_f64 v[200:201], v[0:1], -v[4:5]
	;; [unrolled: 1-line block ×8, first 2 shown]
	v_add_f64 v[146:147], v[146:147], v[158:159]
	v_add_f64 v[158:159], v[176:177], v[178:179]
	;; [unrolled: 1-line block ×5, first 2 shown]
	v_fma_f64 v[148:149], v[110:111], s[0:1], v[226:227]
	v_fma_f64 v[174:175], v[110:111], s[14:15], v[226:227]
	;; [unrolled: 1-line block ×4, first 2 shown]
	v_add_f64 v[138:139], v[150:151], v[138:139]
	v_fma_f64 v[150:151], v[134:135], s[14:15], v[132:133]
	v_fma_f64 v[132:133], v[134:135], s[0:1], v[132:133]
	;; [unrolled: 1-line block ×3, first 2 shown]
	v_add_f64 v[120:121], v[120:121], v[124:125]
	v_fma_f64 v[124:125], v[166:167], s[0:1], v[164:165]
	v_fma_f64 v[164:165], v[166:167], s[14:15], v[164:165]
	;; [unrolled: 1-line block ×10, first 2 shown]
	v_add_f64 v[122:123], v[122:123], v[126:127]
	v_fma_f64 v[126:127], v[184:185], s[14:15], v[170:171]
	v_fma_f64 v[112:113], v[168:169], s[0:1], v[112:113]
	;; [unrolled: 1-line block ×3, first 2 shown]
	v_add_f64 v[24:25], v[198:199], v[200:201]
	v_add_f64 v[28:29], v[206:207], v[210:211]
	;; [unrolled: 1-line block ×4, first 2 shown]
	v_fma_f64 v[148:149], v[108:109], s[6:7], v[148:149]
	v_fma_f64 v[174:175], v[108:109], s[12:13], v[174:175]
	v_add_f64 v[108:109], v[136:137], v[140:141]
	v_fma_f64 v[136:137], v[110:111], s[6:7], v[176:177]
	v_fma_f64 v[140:141], v[110:111], s[12:13], v[116:117]
	v_add_f64 v[110:111], v[138:139], v[142:143]
	v_fma_f64 v[138:139], v[144:145], s[12:13], v[150:151]
	v_fma_f64 v[142:143], v[144:145], s[6:7], v[132:133]
	;; [unrolled: 1-line block ×16, first 2 shown]
	v_add_f64 v[112:113], v[120:121], v[128:129]
	v_add_f64 v[114:115], v[122:123], v[130:131]
	v_fma_f64 v[116:117], v[156:157], s[16:17], v[148:149]
	v_fma_f64 v[132:133], v[228:229], s[16:17], v[136:137]
	;; [unrolled: 1-line block ×10, first 2 shown]
	v_lshl_add_u32 v210, v38, 4, v51
	v_fma_f64 v[154:155], v[172:173], s[16:17], v[178:179]
	v_fma_f64 v[128:129], v[24:25], s[16:17], v[180:181]
	;; [unrolled: 1-line block ×10, first 2 shown]
	buffer_store_dword v41, off, s[48:51], 0 ; 4-byte Folded Spill
	buffer_store_dword v42, off, s[48:51], 0 offset:4 ; 4-byte Folded Spill
	buffer_store_dword v43, off, s[48:51], 0 offset:8 ; 4-byte Folded Spill
	;; [unrolled: 1-line block ×3, first 2 shown]
	s_waitcnt_vscnt null, 0x0
	s_barrier
	buffer_gl0_inv
	ds_write_b128 v36, v[108:111]
	ds_write_b128 v36, v[116:119] offset:208
	ds_write_b128 v36, v[132:135] offset:416
	;; [unrolled: 1-line block ×4, first 2 shown]
	ds_write_b128 v210, v[112:115]
	ds_write_b128 v210, v[140:143] offset:208
	ds_write_b128 v210, v[148:151] offset:416
	;; [unrolled: 1-line block ×4, first 2 shown]
	s_and_saveexec_b32 s12, vcc_lo
	s_cbranch_execz .LBB0_5
; %bb.4:
	v_add_f64 v[14:15], v[106:107], v[14:15]
	v_add_f64 v[12:13], v[104:105], v[12:13]
	v_mul_f64 v[106:107], v[20:21], s[0:1]
	v_mul_f64 v[104:105], v[16:17], s[0:1]
	;; [unrolled: 1-line block ×9, first 2 shown]
	v_add_f64 v[10:11], v[14:15], v[10:11]
	v_add_f64 v[8:9], v[12:13], v[8:9]
	v_add_f64 v[14:15], v[30:31], -v[106:107]
	v_add_f64 v[12:13], v[26:27], v[104:105]
	v_mul_f64 v[26:27], v[28:29], s[16:17]
	v_mul_f64 v[28:29], v[32:33], s[16:17]
	v_add_f64 v[100:101], v[100:101], -v[108:109]
	v_add_f64 v[37:38], v[37:38], v[102:103]
	v_mul_f64 v[30:31], v[34:35], s[16:17]
	v_add_f64 v[6:7], v[10:11], v[6:7]
	v_add_f64 v[10:11], v[8:9], v[4:5]
	;; [unrolled: 1-line block ×4, first 2 shown]
	v_add_f64 v[22:23], v[100:101], -v[22:23]
	v_add_f64 v[18:19], v[37:38], -v[18:19]
	v_add_f64 v[12:13], v[6:7], v[2:3]
	v_add_f64 v[10:11], v[10:11], v[0:1]
	s_clause 0x1
	buffer_load_dword v0, off, s[48:51], 0 offset:228
	buffer_load_dword v1, off, s[48:51], 0 offset:232
	v_add_f64 v[2:3], v[26:27], v[14:15]
	s_clause 0x3
	buffer_load_dword v14, off, s[48:51], 0
	buffer_load_dword v15, off, s[48:51], 0 offset:4
	buffer_load_dword v16, off, s[48:51], 0 offset:8
	;; [unrolled: 1-line block ×3, first 2 shown]
	v_add_f64 v[8:9], v[28:29], v[22:23]
	v_add_f64 v[6:7], v[24:25], v[20:21]
	;; [unrolled: 1-line block ×3, first 2 shown]
	s_waitcnt vmcnt(5)
	v_mul_u32_u24_sdwa v0, v0, v39 dst_sel:DWORD dst_unused:UNUSED_PAD src0_sel:WORD_0 src1_sel:DWORD
	s_waitcnt vmcnt(4)
	v_add_nc_u32_sdwa v0, v0, v1 dst_sel:DWORD dst_unused:UNUSED_PAD src0_sel:DWORD src1_sel:BYTE_0
	v_lshl_add_u32 v0, v0, 4, v51
	s_waitcnt vmcnt(0)
	ds_write_b128 v0, v[14:17] offset:624
	ds_write_b128 v0, v[10:13]
	ds_write_b128 v0, v[6:9] offset:208
	ds_write_b128 v0, v[2:5] offset:416
	;; [unrolled: 1-line block ×3, first 2 shown]
.LBB0_5:
	s_or_b32 exec_lo, exec_lo, s12
	v_mad_u64_u32 v[0:1], null, 0xc0, v45, s[2:3]
	buffer_store_dword v45, off, s[48:51], 0 offset:16 ; 4-byte Folded Spill
	s_waitcnt lgkmcnt(0)
	s_waitcnt_vscnt null, 0x0
	s_barrier
	buffer_gl0_inv
	s_mov_b32 s20, 0x66966769
	s_mov_b32 s21, 0xbfefc445
	s_clause 0x5
	global_load_dwordx4 v[120:123], v[0:1], off offset:832
	global_load_dwordx4 v[112:115], v[0:1], off offset:848
	;; [unrolled: 1-line block ×6, first 2 shown]
	ds_read_b128 v[2:5], v255 offset:1040
	ds_read_b128 v[6:9], v255 offset:2080
	;; [unrolled: 1-line block ×3, first 2 shown]
	ds_read_b128 v[20:23], v255
	ds_read_b128 v[14:17], v255 offset:4160
	ds_read_b128 v[24:27], v255 offset:5200
	global_load_dwordx4 v[132:135], v[0:1], off offset:928
	s_mov_b32 s30, 0x4267c47c
	s_mov_b32 s18, 0x42a4c3d2
	;; [unrolled: 1-line block ×33, first 2 shown]
	s_waitcnt vmcnt(6) lgkmcnt(5)
	v_mul_f64 v[18:19], v[4:5], v[122:123]
	v_mul_f64 v[28:29], v[2:3], v[122:123]
	s_waitcnt vmcnt(5) lgkmcnt(4)
	v_mul_f64 v[30:31], v[8:9], v[114:115]
	v_mul_f64 v[32:33], v[6:7], v[114:115]
	s_waitcnt vmcnt(4) lgkmcnt(3)
	v_mul_f64 v[34:35], v[12:13], v[106:107]
	s_waitcnt vmcnt(3) lgkmcnt(1)
	v_mul_f64 v[136:137], v[16:17], v[102:103]
	v_mul_f64 v[138:139], v[14:15], v[102:103]
	;; [unrolled: 1-line block ×3, first 2 shown]
	s_waitcnt vmcnt(2) lgkmcnt(0)
	v_mul_f64 v[140:141], v[26:27], v[110:111]
	v_fma_f64 v[18:19], v[2:3], v[120:121], -v[18:19]
	v_fma_f64 v[28:29], v[4:5], v[120:121], v[28:29]
	ds_read_b128 v[2:5], v255 offset:6240
	v_fma_f64 v[156:157], v[6:7], v[112:113], -v[30:31]
	v_fma_f64 v[158:159], v[8:9], v[112:113], v[32:33]
	ds_read_b128 v[6:9], v255 offset:7280
	v_fma_f64 v[162:163], v[10:11], v[104:105], -v[34:35]
	v_fma_f64 v[166:167], v[14:15], v[100:101], -v[136:137]
	v_fma_f64 v[168:169], v[16:17], v[100:101], v[138:139]
	global_load_dwordx4 v[136:139], v[0:1], off offset:944
	v_fma_f64 v[164:165], v[12:13], v[104:105], v[37:38]
	v_fma_f64 v[170:171], v[24:25], v[108:109], -v[140:141]
	v_mul_f64 v[30:31], v[24:25], v[110:111]
	s_waitcnt vmcnt(2) lgkmcnt(1)
	v_mul_f64 v[10:11], v[4:5], v[118:119]
	v_mul_f64 v[12:13], v[2:3], v[118:119]
	v_fma_f64 v[172:173], v[26:27], v[108:109], v[30:31]
	v_fma_f64 v[174:175], v[2:3], v[116:117], -v[10:11]
	s_waitcnt vmcnt(1) lgkmcnt(0)
	v_mul_f64 v[2:3], v[8:9], v[134:135]
	v_fma_f64 v[176:177], v[4:5], v[116:117], v[12:13]
	v_fma_f64 v[178:179], v[6:7], v[132:133], -v[2:3]
	v_mul_f64 v[2:3], v[6:7], v[134:135]
	v_add_f64 v[124:125], v[174:175], -v[178:179]
	v_fma_f64 v[180:181], v[8:9], v[132:133], v[2:3]
	ds_read_b128 v[2:5], v255 offset:8320
	ds_read_b128 v[6:9], v255 offset:9360
	s_clause 0x1
	global_load_dwordx4 v[140:143], v[0:1], off offset:960
	global_load_dwordx4 v[144:147], v[0:1], off offset:976
	v_add_f64 v[49:50], v[174:175], v[178:179]
	v_mul_f64 v[247:248], v[124:125], s[2:3]
	v_add_f64 v[47:48], v[176:177], -v[180:181]
	v_add_f64 v[239:240], v[176:177], v[180:181]
	v_mul_f64 v[160:161], v[47:48], s[2:3]
	s_waitcnt vmcnt(2) lgkmcnt(1)
	v_mul_f64 v[10:11], v[4:5], v[138:139]
	v_fma_f64 v[182:183], v[2:3], v[136:137], -v[10:11]
	v_mul_f64 v[2:3], v[2:3], v[138:139]
	v_add_f64 v[43:44], v[170:171], -v[182:183]
	v_fma_f64 v[184:185], v[4:5], v[136:137], v[2:3]
	v_mul_f64 v[45:46], v[43:44], s[6:7]
	v_add_f64 v[39:40], v[172:173], -v[184:185]
	s_waitcnt vmcnt(1) lgkmcnt(0)
	v_mul_f64 v[2:3], v[8:9], v[142:143]
	v_mul_f64 v[41:42], v[39:40], s[6:7]
	v_fma_f64 v[186:187], v[6:7], v[140:141], -v[2:3]
	v_mul_f64 v[2:3], v[6:7], v[142:143]
	v_add_f64 v[251:252], v[166:167], v[186:187]
	v_fma_f64 v[188:189], v[8:9], v[140:141], v[2:3]
	ds_read_b128 v[2:5], v255 offset:10400
	ds_read_b128 v[6:9], v255 offset:11440
	s_clause 0x1
	global_load_dwordx4 v[148:151], v[0:1], off offset:992
	global_load_dwordx4 v[152:155], v[0:1], off offset:1008
	s_waitcnt vmcnt(2) lgkmcnt(1)
	v_mul_f64 v[10:11], v[4:5], v[146:147]
	v_fma_f64 v[190:191], v[2:3], v[144:145], -v[10:11]
	v_mul_f64 v[2:3], v[2:3], v[146:147]
	v_add_f64 v[245:246], v[162:163], -v[190:191]
	v_fma_f64 v[192:193], v[4:5], v[144:145], v[2:3]
	v_add_f64 v[243:244], v[164:165], -v[192:193]
	s_waitcnt vmcnt(1) lgkmcnt(0)
	v_mul_f64 v[0:1], v[8:9], v[150:151]
	v_fma_f64 v[194:195], v[6:7], v[148:149], -v[0:1]
	v_mul_f64 v[0:1], v[6:7], v[150:151]
	v_fma_f64 v[196:197], v[8:9], v[148:149], v[0:1]
	ds_read_b128 v[0:3], v255 offset:12480
	s_waitcnt vmcnt(0) lgkmcnt(0)
	v_mul_f64 v[4:5], v[2:3], v[154:155]
	v_fma_f64 v[198:199], v[0:1], v[152:153], -v[4:5]
	v_mul_f64 v[0:1], v[0:1], v[154:155]
	v_add_f64 v[12:13], v[18:19], v[198:199]
	v_fma_f64 v[200:201], v[2:3], v[152:153], v[0:1]
	v_add_f64 v[0:1], v[28:29], -v[200:201]
	v_add_f64 v[213:214], v[28:29], v[200:201]
	v_mul_f64 v[6:7], v[0:1], s[20:21]
	v_mul_f64 v[2:3], v[0:1], s[30:31]
	;; [unrolled: 1-line block ×6, first 2 shown]
	v_fma_f64 v[26:27], v[12:13], s[26:27], -v[6:7]
	v_fma_f64 v[30:31], v[12:13], s[26:27], v[6:7]
	v_add_f64 v[6:7], v[18:19], -v[198:199]
	v_fma_f64 v[14:15], v[12:13], s[28:29], -v[2:3]
	v_fma_f64 v[2:3], v[12:13], s[28:29], v[2:3]
	v_fma_f64 v[24:25], v[12:13], s[24:25], -v[4:5]
	v_fma_f64 v[4:5], v[12:13], s[24:25], v[4:5]
	;; [unrolled: 2-line block ×5, first 2 shown]
	v_add_f64 v[126:127], v[20:21], v[30:31]
	v_mul_f64 v[12:13], v[6:7], s[30:31]
	v_mul_f64 v[16:17], v[6:7], s[18:19]
	;; [unrolled: 1-line block ×6, first 2 shown]
	v_add_f64 v[233:234], v[20:21], v[8:9]
	v_add_f64 v[229:230], v[20:21], v[34:35]
	;; [unrolled: 1-line block ×4, first 2 shown]
	v_fma_f64 v[215:216], v[213:214], s[28:29], v[12:13]
	v_fma_f64 v[12:13], v[213:214], s[28:29], -v[12:13]
	v_fma_f64 v[217:218], v[213:214], s[24:25], v[16:17]
	v_fma_f64 v[219:220], v[213:214], s[24:25], -v[16:17]
	;; [unrolled: 2-line block ×6, first 2 shown]
	v_add_f64 v[6:7], v[20:21], v[18:19]
	buffer_store_dword v6, off, s[48:51], 0 offset:244 ; 4-byte Folded Spill
	buffer_store_dword v7, off, s[48:51], 0 offset:248 ; 4-byte Folded Spill
	v_add_f64 v[6:7], v[22:23], v[28:29]
	buffer_store_dword v6, off, s[48:51], 0 offset:252 ; 4-byte Folded Spill
	buffer_store_dword v7, off, s[48:51], 0 offset:256 ; 4-byte Folded Spill
	;; [unrolled: 1-line block ×4, first 2 shown]
	v_add_f64 v[8:9], v[22:23], v[235:236]
	v_add_f64 v[6:7], v[20:21], v[4:5]
	;; [unrolled: 1-line block ×4, first 2 shown]
	v_add_f64 v[219:220], v[158:159], -v[196:197]
	v_add_f64 v[221:222], v[156:157], -v[194:195]
	buffer_store_dword v8, off, s[48:51], 0 offset:276 ; 4-byte Folded Spill
	buffer_store_dword v9, off, s[48:51], 0 offset:280 ; 4-byte Folded Spill
	;; [unrolled: 1-line block ×4, first 2 shown]
	v_add_f64 v[0:1], v[22:23], v[213:214]
	v_add_f64 v[28:29], v[20:21], v[14:15]
	;; [unrolled: 1-line block ×16, first 2 shown]
	v_mul_f64 v[20:21], v[219:220], s[18:19]
	v_add_f64 v[213:214], v[158:159], v[196:197]
	v_mul_f64 v[22:23], v[221:222], s[18:19]
	buffer_store_dword v0, off, s[48:51], 0 offset:268 ; 4-byte Folded Spill
	buffer_store_dword v1, off, s[48:51], 0 offset:272 ; 4-byte Folded Spill
	v_add_f64 v[235:236], v[162:163], v[190:191]
	v_mul_f64 v[24:25], v[243:244], s[20:21]
	v_mul_f64 v[26:27], v[245:246], s[20:21]
	v_fma_f64 v[0:1], v[211:212], s[24:25], -v[20:21]
	v_fma_f64 v[20:21], v[211:212], s[24:25], v[20:21]
	v_fma_f64 v[8:9], v[213:214], s[24:25], v[22:23]
	v_fma_f64 v[10:11], v[235:236], s[26:27], -v[24:25]
	v_add_f64 v[0:1], v[0:1], v[28:29]
	v_add_f64 v[18:19], v[20:21], v[18:19]
	;; [unrolled: 1-line block ×4, first 2 shown]
	v_fma_f64 v[20:21], v[213:214], s[24:25], -v[22:23]
	v_fma_f64 v[22:23], v[239:240], s[12:13], -v[247:248]
	v_add_f64 v[0:1], v[10:11], v[0:1]
	v_fma_f64 v[10:11], v[237:238], s[26:27], v[26:27]
	v_add_f64 v[16:17], v[20:21], v[16:17]
	v_fma_f64 v[20:21], v[235:236], s[26:27], v[24:25]
	v_add_f64 v[32:33], v[10:11], v[8:9]
	v_add_f64 v[8:9], v[168:169], -v[188:189]
	v_add_f64 v[18:19], v[20:21], v[18:19]
	v_fma_f64 v[20:21], v[237:238], s[26:27], -v[26:27]
	v_mul_f64 v[28:29], v[8:9], s[14:15]
	v_add_f64 v[16:17], v[20:21], v[16:17]
	v_fma_f64 v[10:11], v[251:252], s[22:23], -v[28:29]
	v_fma_f64 v[20:21], v[251:252], s[22:23], v[28:29]
	v_add_f64 v[34:35], v[10:11], v[0:1]
	v_add_f64 v[10:11], v[166:167], -v[186:187]
	v_add_f64 v[0:1], v[168:169], v[188:189]
	v_add_f64 v[18:19], v[20:21], v[18:19]
	v_mul_f64 v[30:31], v[10:11], s[14:15]
	v_fma_f64 v[204:205], v[0:1], s[22:23], v[30:31]
	v_fma_f64 v[20:21], v[0:1], s[22:23], -v[30:31]
	v_add_f64 v[204:205], v[204:205], v[32:33]
	v_add_f64 v[32:33], v[170:171], v[182:183]
	;; [unrolled: 1-line block ×3, first 2 shown]
	v_fma_f64 v[206:207], v[32:33], s[16:17], -v[41:42]
	v_fma_f64 v[20:21], v[32:33], s[16:17], v[41:42]
	v_add_f64 v[206:207], v[206:207], v[34:35]
	v_add_f64 v[34:35], v[172:173], v[184:185]
	;; [unrolled: 1-line block ×3, first 2 shown]
	v_fma_f64 v[20:21], v[34:35], s[16:17], -v[45:46]
	v_fma_f64 v[37:38], v[34:35], s[16:17], v[45:46]
	v_add_f64 v[20:21], v[20:21], v[16:17]
	v_fma_f64 v[16:17], v[49:50], s[12:13], v[160:161]
	v_add_f64 v[37:38], v[37:38], v[204:205]
	v_fma_f64 v[204:205], v[49:50], s[12:13], -v[160:161]
	v_mul_f64 v[160:161], v[47:48], s[36:37]
	v_add_f64 v[16:17], v[16:17], v[18:19]
	v_add_f64 v[18:19], v[22:23], v[20:21]
	v_mul_f64 v[20:21], v[219:220], s[14:15]
	v_add_f64 v[204:205], v[204:205], v[206:207]
	v_fma_f64 v[206:207], v[239:240], s[12:13], v[247:248]
	v_mul_f64 v[247:248], v[124:125], s[36:37]
	v_fma_f64 v[22:23], v[211:212], s[22:23], -v[20:21]
	v_fma_f64 v[20:21], v[211:212], s[22:23], v[20:21]
	v_add_f64 v[206:207], v[206:207], v[37:38]
	v_add_f64 v[14:15], v[22:23], v[14:15]
	v_mul_f64 v[22:23], v[221:222], s[14:15]
	v_add_f64 v[6:7], v[20:21], v[6:7]
	v_fma_f64 v[24:25], v[213:214], s[22:23], v[22:23]
	v_fma_f64 v[20:21], v[213:214], s[22:23], -v[22:23]
	v_fma_f64 v[22:23], v[239:240], s[28:29], -v[247:248]
	v_add_f64 v[12:13], v[24:25], v[12:13]
	v_mul_f64 v[24:25], v[243:244], s[2:3]
	v_add_f64 v[4:5], v[20:21], v[4:5]
	v_fma_f64 v[26:27], v[235:236], s[12:13], -v[24:25]
	v_fma_f64 v[20:21], v[235:236], s[12:13], v[24:25]
	v_mul_f64 v[24:25], v[219:220], s[2:3]
	v_add_f64 v[14:15], v[26:27], v[14:15]
	v_mul_f64 v[26:27], v[245:246], s[2:3]
	v_add_f64 v[6:7], v[20:21], v[6:7]
	v_fma_f64 v[28:29], v[237:238], s[12:13], v[26:27]
	v_fma_f64 v[20:21], v[237:238], s[12:13], -v[26:27]
	v_mul_f64 v[26:27], v[221:222], s[2:3]
	v_add_f64 v[12:13], v[28:29], v[12:13]
	v_mul_f64 v[28:29], v[8:9], s[38:39]
	v_add_f64 v[4:5], v[20:21], v[4:5]
	v_fma_f64 v[30:31], v[251:252], s[16:17], -v[28:29]
	v_fma_f64 v[20:21], v[251:252], s[16:17], v[28:29]
	v_mul_f64 v[28:29], v[243:244], s[40:41]
	v_add_f64 v[14:15], v[30:31], v[14:15]
	v_mul_f64 v[30:31], v[10:11], s[38:39]
	v_add_f64 v[6:7], v[20:21], v[6:7]
	v_fma_f64 v[37:38], v[0:1], s[16:17], v[30:31]
	v_fma_f64 v[20:21], v[0:1], s[16:17], -v[30:31]
	v_mul_f64 v[30:31], v[245:246], s[40:41]
	v_add_f64 v[12:13], v[37:38], v[12:13]
	v_mul_f64 v[37:38], v[39:40], s[34:35]
	v_add_f64 v[4:5], v[20:21], v[4:5]
	v_fma_f64 v[41:42], v[32:33], s[26:27], -v[37:38]
	v_fma_f64 v[20:21], v[32:33], s[26:27], v[37:38]
	v_mul_f64 v[37:38], v[8:9], s[36:37]
	v_add_f64 v[14:15], v[41:42], v[14:15]
	v_mul_f64 v[41:42], v[43:44], s[34:35]
	v_add_f64 v[6:7], v[20:21], v[6:7]
	v_fma_f64 v[20:21], v[34:35], s[26:27], -v[41:42]
	v_fma_f64 v[45:46], v[34:35], s[26:27], v[41:42]
	v_mul_f64 v[41:42], v[10:11], s[36:37]
	v_add_f64 v[20:21], v[20:21], v[4:5]
	v_fma_f64 v[4:5], v[49:50], s[28:29], v[160:161]
	v_add_f64 v[45:46], v[45:46], v[12:13]
	v_fma_f64 v[12:13], v[49:50], s[28:29], -v[160:161]
	v_mul_f64 v[160:161], v[43:44], s[18:19]
	v_add_f64 v[4:5], v[4:5], v[6:7]
	v_add_f64 v[6:7], v[22:23], v[20:21]
	v_fma_f64 v[20:21], v[211:212], s[12:13], -v[24:25]
	v_fma_f64 v[22:23], v[235:236], s[22:23], -v[28:29]
	v_fma_f64 v[24:25], v[211:212], s[12:13], v[24:25]
	v_add_f64 v[12:13], v[12:13], v[14:15]
	v_fma_f64 v[14:15], v[239:240], s[28:29], v[247:248]
	v_fma_f64 v[28:29], v[235:236], s[22:23], v[28:29]
	v_mul_f64 v[247:248], v[47:48], s[6:7]
	v_add_f64 v[2:3], v[20:21], v[2:3]
	v_fma_f64 v[20:21], v[213:214], s[12:13], v[26:27]
	v_add_f64 v[24:25], v[24:25], v[126:127]
	v_fma_f64 v[26:27], v[213:214], s[12:13], -v[26:27]
	v_add_f64 v[14:15], v[14:15], v[45:46]
	v_mul_f64 v[45:46], v[39:40], s[18:19]
	v_add_f64 v[2:3], v[22:23], v[2:3]
	v_add_f64 v[20:21], v[20:21], v[253:254]
	v_fma_f64 v[22:23], v[237:238], s[22:23], v[30:31]
	v_add_f64 v[26:27], v[26:27], v[241:242]
	v_add_f64 v[24:25], v[28:29], v[24:25]
	v_fma_f64 v[28:29], v[237:238], s[22:23], -v[30:31]
	v_add_f64 v[20:21], v[22:23], v[20:21]
	v_fma_f64 v[22:23], v[251:252], s[28:29], -v[37:38]
	v_add_f64 v[26:27], v[28:29], v[26:27]
	v_fma_f64 v[28:29], v[251:252], s[28:29], v[37:38]
	v_mul_f64 v[37:38], v[221:222], s[38:39]
	v_add_f64 v[2:3], v[22:23], v[2:3]
	v_fma_f64 v[22:23], v[0:1], s[28:29], v[41:42]
	v_add_f64 v[24:25], v[28:29], v[24:25]
	v_fma_f64 v[28:29], v[0:1], s[28:29], -v[41:42]
	v_mul_f64 v[41:42], v[243:244], s[36:37]
	v_fma_f64 v[30:31], v[213:214], s[16:17], v[37:38]
	v_fma_f64 v[37:38], v[213:214], s[16:17], -v[37:38]
	v_add_f64 v[20:21], v[22:23], v[20:21]
	v_fma_f64 v[22:23], v[32:33], s[24:25], -v[45:46]
	v_add_f64 v[26:27], v[28:29], v[26:27]
	v_fma_f64 v[28:29], v[32:33], s[24:25], v[45:46]
	v_fma_f64 v[45:46], v[235:236], s[28:29], -v[41:42]
	v_add_f64 v[30:31], v[30:31], v[217:218]
	v_fma_f64 v[41:42], v[235:236], s[28:29], v[41:42]
	v_add_f64 v[37:38], v[37:38], v[231:232]
	v_add_f64 v[2:3], v[22:23], v[2:3]
	v_fma_f64 v[22:23], v[34:35], s[24:25], v[160:161]
	v_add_f64 v[24:25], v[28:29], v[24:25]
	v_fma_f64 v[28:29], v[34:35], s[24:25], -v[160:161]
	v_add_f64 v[22:23], v[22:23], v[20:21]
	v_fma_f64 v[20:21], v[49:50], s[16:17], -v[247:248]
	v_add_f64 v[26:27], v[28:29], v[26:27]
	v_fma_f64 v[28:29], v[49:50], s[16:17], v[247:248]
	v_add_f64 v[20:21], v[20:21], v[2:3]
	v_mul_f64 v[2:3], v[124:125], s[6:7]
	v_add_f64 v[24:25], v[28:29], v[24:25]
	v_fma_f64 v[249:250], v[239:240], s[16:17], v[2:3]
	v_fma_f64 v[2:3], v[239:240], s[16:17], -v[2:3]
	v_add_f64 v[22:23], v[249:250], v[22:23]
	v_add_f64 v[26:27], v[2:3], v[26:27]
	v_mul_f64 v[2:3], v[219:220], s[38:39]
	v_fma_f64 v[28:29], v[211:212], s[16:17], -v[2:3]
	v_fma_f64 v[2:3], v[211:212], s[16:17], v[2:3]
	v_add_f64 v[28:29], v[28:29], v[215:216]
	v_add_f64 v[2:3], v[2:3], v[233:234]
	v_add_f64 v[28:29], v[45:46], v[28:29]
	v_mul_f64 v[45:46], v[245:246], s[36:37]
	v_add_f64 v[2:3], v[41:42], v[2:3]
	v_fma_f64 v[126:127], v[237:238], s[28:29], v[45:46]
	v_fma_f64 v[41:42], v[237:238], s[28:29], -v[45:46]
	v_add_f64 v[30:31], v[126:127], v[30:31]
	v_mul_f64 v[126:127], v[8:9], s[20:21]
	v_add_f64 v[37:38], v[41:42], v[37:38]
	v_fma_f64 v[160:161], v[251:252], s[26:27], -v[126:127]
	v_fma_f64 v[41:42], v[251:252], s[26:27], v[126:127]
	v_mul_f64 v[126:127], v[243:244], s[18:19]
	v_add_f64 v[28:29], v[160:161], v[28:29]
	v_mul_f64 v[160:161], v[10:11], s[20:21]
	v_add_f64 v[2:3], v[41:42], v[2:3]
	v_fma_f64 v[215:216], v[0:1], s[26:27], v[160:161]
	v_fma_f64 v[41:42], v[0:1], s[26:27], -v[160:161]
	v_fma_f64 v[160:161], v[235:236], s[24:25], -v[126:127]
	v_add_f64 v[30:31], v[215:216], v[30:31]
	v_mul_f64 v[215:216], v[39:40], s[44:45]
	v_add_f64 v[37:38], v[41:42], v[37:38]
	v_fma_f64 v[217:218], v[32:33], s[12:13], -v[215:216]
	v_fma_f64 v[41:42], v[32:33], s[12:13], v[215:216]
	v_add_f64 v[28:29], v[217:218], v[28:29]
	v_mul_f64 v[217:218], v[43:44], s[44:45]
	v_add_f64 v[2:3], v[41:42], v[2:3]
	v_fma_f64 v[241:242], v[34:35], s[12:13], v[217:218]
	v_fma_f64 v[41:42], v[34:35], s[12:13], -v[217:218]
	v_add_f64 v[30:31], v[241:242], v[30:31]
	v_mul_f64 v[241:242], v[47:48], s[42:43]
	v_add_f64 v[37:38], v[41:42], v[37:38]
	v_fma_f64 v[247:248], v[49:50], s[24:25], -v[241:242]
	v_fma_f64 v[41:42], v[49:50], s[24:25], v[241:242]
	v_mul_f64 v[241:242], v[39:40], s[36:37]
	v_mul_f64 v[39:40], v[39:40], s[14:15]
	v_add_f64 v[28:29], v[247:248], v[28:29]
	v_mul_f64 v[247:248], v[124:125], s[42:43]
	v_add_f64 v[231:232], v[41:42], v[2:3]
	v_mul_f64 v[2:3], v[219:220], s[34:35]
	v_mul_f64 v[41:42], v[221:222], s[34:35]
	v_fma_f64 v[45:46], v[239:240], s[24:25], -v[247:248]
	v_fma_f64 v[249:250], v[239:240], s[24:25], v[247:248]
	v_mul_f64 v[247:248], v[43:44], s[36:37]
	v_mul_f64 v[43:44], v[43:44], s[14:15]
	v_add_f64 v[233:234], v[45:46], v[37:38]
	v_fma_f64 v[37:38], v[211:212], s[26:27], -v[2:3]
	v_fma_f64 v[45:46], v[213:214], s[26:27], v[41:42]
	v_add_f64 v[30:31], v[249:250], v[30:31]
	v_mul_f64 v[249:250], v[47:48], s[14:15]
	v_fma_f64 v[2:3], v[211:212], s[26:27], v[2:3]
	v_fma_f64 v[41:42], v[213:214], s[26:27], -v[41:42]
	v_add_f64 v[37:38], v[37:38], v[229:230]
	v_add_f64 v[45:46], v[45:46], v[227:228]
	;; [unrolled: 1-line block ×5, first 2 shown]
	v_mul_f64 v[160:161], v[245:246], s[18:19]
	v_fma_f64 v[215:216], v[237:238], s[24:25], v[160:161]
	v_add_f64 v[45:46], v[215:216], v[45:46]
	v_mul_f64 v[215:216], v[8:9], s[44:45]
	v_fma_f64 v[217:218], v[251:252], s[12:13], -v[215:216]
	v_add_f64 v[37:38], v[217:218], v[37:38]
	v_mul_f64 v[217:218], v[10:11], s[44:45]
	v_fma_f64 v[227:228], v[0:1], s[12:13], v[217:218]
	v_add_f64 v[45:46], v[227:228], v[45:46]
	v_fma_f64 v[227:228], v[32:33], s[28:29], -v[241:242]
	v_add_f64 v[37:38], v[227:228], v[37:38]
	v_fma_f64 v[227:228], v[34:35], s[28:29], v[247:248]
	v_add_f64 v[45:46], v[227:228], v[45:46]
	v_fma_f64 v[227:228], v[49:50], s[22:23], -v[249:250]
	v_add_f64 v[227:228], v[227:228], v[37:38]
	v_mul_f64 v[37:38], v[124:125], s[14:15]
	v_fma_f64 v[229:230], v[239:240], s[22:23], v[37:38]
	v_fma_f64 v[37:38], v[239:240], s[22:23], -v[37:38]
	v_add_f64 v[229:230], v[229:230], v[45:46]
	v_fma_f64 v[45:46], v[235:236], s[24:25], v[126:127]
	v_add_f64 v[2:3], v[45:46], v[2:3]
	v_fma_f64 v[45:46], v[237:238], s[24:25], -v[160:161]
	v_add_f64 v[41:42], v[45:46], v[41:42]
	v_fma_f64 v[45:46], v[251:252], s[12:13], v[215:216]
	v_add_f64 v[2:3], v[45:46], v[2:3]
	;; [unrolled: 4-line block ×4, first 2 shown]
	s_clause 0x3
	buffer_load_dword v41, off, s[48:51], 0 offset:284
	buffer_load_dword v42, off, s[48:51], 0 offset:288
	;; [unrolled: 1-line block ×4, first 2 shown]
	v_add_f64 v[223:224], v[45:46], v[2:3]
	v_mul_f64 v[2:3], v[219:220], s[36:37]
	v_fma_f64 v[37:38], v[211:212], s[28:29], -v[2:3]
	v_fma_f64 v[2:3], v[211:212], s[28:29], v[2:3]
	s_waitcnt vmcnt(2)
	v_add_f64 v[37:38], v[37:38], v[41:42]
	v_mul_f64 v[41:42], v[221:222], s[36:37]
	v_fma_f64 v[45:46], v[213:214], s[28:29], v[41:42]
	v_fma_f64 v[41:42], v[213:214], s[28:29], -v[41:42]
	s_waitcnt vmcnt(0)
	v_add_f64 v[45:46], v[45:46], v[126:127]
	v_mul_f64 v[126:127], v[243:244], s[6:7]
	v_fma_f64 v[160:161], v[235:236], s[16:17], -v[126:127]
	v_add_f64 v[37:38], v[160:161], v[37:38]
	v_mul_f64 v[160:161], v[245:246], s[6:7]
	v_fma_f64 v[215:216], v[237:238], s[16:17], v[160:161]
	v_add_f64 v[45:46], v[215:216], v[45:46]
	v_mul_f64 v[215:216], v[8:9], s[42:43]
	v_fma_f64 v[8:9], v[251:252], s[24:25], -v[215:216]
	v_add_f64 v[8:9], v[8:9], v[37:38]
	v_mul_f64 v[37:38], v[10:11], s[42:43]
	v_fma_f64 v[10:11], v[0:1], s[24:25], v[37:38]
	v_fma_f64 v[0:1], v[0:1], s[24:25], -v[37:38]
	v_add_f64 v[10:11], v[10:11], v[45:46]
	v_fma_f64 v[45:46], v[32:33], s[22:23], -v[39:40]
	v_fma_f64 v[32:33], v[32:33], s[22:23], v[39:40]
	v_add_f64 v[8:9], v[45:46], v[8:9]
	v_fma_f64 v[45:46], v[34:35], s[22:23], v[43:44]
	v_fma_f64 v[34:35], v[34:35], s[22:23], -v[43:44]
	v_add_f64 v[10:11], v[45:46], v[10:11]
	v_mul_f64 v[45:46], v[47:48], s[34:35]
	v_mul_f64 v[47:48], v[124:125], s[34:35]
	v_fma_f64 v[124:125], v[49:50], s[26:27], -v[45:46]
	v_fma_f64 v[39:40], v[239:240], s[26:27], -v[47:48]
	v_add_f64 v[8:9], v[124:125], v[8:9]
	v_fma_f64 v[124:125], v[239:240], s[26:27], v[47:48]
	v_add_f64 v[10:11], v[124:125], v[10:11]
	v_fma_f64 v[124:125], v[235:236], s[16:17], v[126:127]
	v_fma_f64 v[126:127], v[237:238], s[16:17], -v[160:161]
	s_clause 0x1
	buffer_load_dword v160, off, s[48:51], 0 offset:260
	buffer_load_dword v161, off, s[48:51], 0 offset:264
	s_waitcnt vmcnt(0)
	v_add_f64 v[2:3], v[2:3], v[160:161]
	s_clause 0x1
	buffer_load_dword v160, off, s[48:51], 0 offset:268
	buffer_load_dword v161, off, s[48:51], 0 offset:272
	v_add_f64 v[2:3], v[124:125], v[2:3]
	s_waitcnt vmcnt(0)
	v_add_f64 v[41:42], v[41:42], v[160:161]
	v_fma_f64 v[160:161], v[251:252], s[24:25], v[215:216]
	v_add_f64 v[37:38], v[126:127], v[41:42]
	v_add_f64 v[2:3], v[160:161], v[2:3]
	;; [unrolled: 1-line block ×3, first 2 shown]
	v_fma_f64 v[37:38], v[49:50], s[26:27], v[45:46]
	v_add_f64 v[2:3], v[32:33], v[2:3]
	v_add_f64 v[32:33], v[34:35], v[0:1]
	;; [unrolled: 1-line block ×4, first 2 shown]
	s_clause 0x3
	buffer_load_dword v32, off, s[48:51], 0 offset:244
	buffer_load_dword v33, off, s[48:51], 0 offset:248
	;; [unrolled: 1-line block ×4, first 2 shown]
	s_waitcnt vmcnt(2)
	v_add_f64 v[32:33], v[32:33], v[156:157]
	s_waitcnt vmcnt(0)
	v_add_f64 v[34:35], v[34:35], v[158:159]
	v_add_f64 v[32:33], v[32:33], v[162:163]
	;; [unrolled: 1-line block ×21, first 2 shown]
	ds_write_b128 v255, v[204:207] offset:1040
	ds_write_b128 v255, v[12:15] offset:2080
	;; [unrolled: 1-line block ×12, first 2 shown]
	ds_write_b128 v255, v[32:35]
	s_waitcnt lgkmcnt(0)
	s_waitcnt_vscnt null, 0x0
	s_barrier
	buffer_gl0_inv
	s_clause 0x1
	buffer_load_dword v0, off, s[48:51], 0 offset:236
	buffer_load_dword v1, off, s[48:51], 0 offset:240
	v_add_co_u32 v4, s0, 0x34d0, v202
	v_add_co_ci_u32_e64 v5, s0, 0, v203, s0
	global_load_dwordx4 v[4:7], v[4:5], off offset:1040
	s_waitcnt vmcnt(1)
	global_load_dwordx4 v[0:3], v[0:1], off offset:1232
	ds_read_b128 v[8:11], v255
	ds_read_b128 v[12:15], v255 offset:1040
	s_waitcnt vmcnt(0) lgkmcnt(1)
	v_mul_f64 v[16:17], v[10:11], v[2:3]
	v_mul_f64 v[2:3], v[8:9], v[2:3]
	v_fma_f64 v[156:157], v[8:9], v[0:1], -v[16:17]
	v_fma_f64 v[158:159], v[10:11], v[0:1], v[2:3]
	v_add_co_u32 v0, s0, 0x3800, v202
	v_add_co_ci_u32_e64 v1, s0, 0, v203, s0
	s_waitcnt lgkmcnt(0)
	v_mul_f64 v[8:9], v[14:15], v[6:7]
	v_mul_f64 v[6:7], v[12:13], v[6:7]
	v_add_co_u32 v16, s0, 0x4000, v202
	global_load_dwordx4 v[0:3], v[0:1], off offset:1264
	v_add_co_ci_u32_e64 v17, s0, 0, v203, s0
	v_add_co_u32 v20, s0, 0x4800, v202
	v_add_co_ci_u32_e64 v21, s0, 0, v203, s0
	v_add_co_u32 v28, s0, 0x5000, v202
	;; [unrolled: 2-line block ×3, first 2 shown]
	v_add_co_ci_u32_e64 v38, s0, 0, v203, s0
	v_fma_f64 v[160:161], v[12:13], v[4:5], -v[8:9]
	v_fma_f64 v[162:163], v[14:15], v[4:5], v[6:7]
	global_load_dwordx4 v[4:7], v[16:17], off offset:256
	ds_read_b128 v[8:11], v255 offset:2080
	ds_read_b128 v[12:15], v255 offset:3120
	s_waitcnt vmcnt(1) lgkmcnt(1)
	v_mul_f64 v[18:19], v[10:11], v[2:3]
	v_mul_f64 v[2:3], v[8:9], v[2:3]
	v_fma_f64 v[164:165], v[8:9], v[0:1], -v[18:19]
	v_fma_f64 v[166:167], v[10:11], v[0:1], v[2:3]
	s_waitcnt vmcnt(0) lgkmcnt(0)
	v_mul_f64 v[0:1], v[14:15], v[6:7]
	v_mul_f64 v[2:3], v[12:13], v[6:7]
	global_load_dwordx4 v[8:11], v[20:21], off offset:288
	v_fma_f64 v[0:1], v[12:13], v[4:5], -v[0:1]
	v_fma_f64 v[2:3], v[14:15], v[4:5], v[2:3]
	global_load_dwordx4 v[4:7], v[16:17], off offset:1296
	ds_read_b128 v[12:15], v255 offset:4160
	ds_read_b128 v[16:19], v255 offset:5200
	s_waitcnt vmcnt(0) lgkmcnt(1)
	v_mul_f64 v[22:23], v[14:15], v[6:7]
	v_mul_f64 v[6:7], v[12:13], v[6:7]
	v_fma_f64 v[12:13], v[12:13], v[4:5], -v[22:23]
	v_fma_f64 v[14:15], v[14:15], v[4:5], v[6:7]
	s_waitcnt lgkmcnt(0)
	v_mul_f64 v[4:5], v[18:19], v[10:11]
	v_mul_f64 v[6:7], v[16:17], v[10:11]
	v_fma_f64 v[4:5], v[16:17], v[8:9], -v[4:5]
	v_fma_f64 v[6:7], v[18:19], v[8:9], v[6:7]
	s_clause 0x1
	global_load_dwordx4 v[8:11], v[20:21], off offset:1328
	global_load_dwordx4 v[16:19], v[28:29], off offset:320
	ds_read_b128 v[20:23], v255 offset:6240
	ds_read_b128 v[24:27], v255 offset:7280
	s_waitcnt vmcnt(1) lgkmcnt(1)
	v_mul_f64 v[30:31], v[22:23], v[10:11]
	v_mul_f64 v[10:11], v[20:21], v[10:11]
	v_fma_f64 v[20:21], v[20:21], v[8:9], -v[30:31]
	v_fma_f64 v[22:23], v[22:23], v[8:9], v[10:11]
	s_waitcnt vmcnt(0) lgkmcnt(0)
	v_mul_f64 v[8:9], v[26:27], v[18:19]
	v_mul_f64 v[10:11], v[24:25], v[18:19]
	v_fma_f64 v[8:9], v[24:25], v[16:17], -v[8:9]
	v_fma_f64 v[10:11], v[26:27], v[16:17], v[10:11]
	s_clause 0x1
	global_load_dwordx4 v[16:19], v[28:29], off offset:1360
	global_load_dwordx4 v[24:27], v[37:38], off offset:352
	ds_read_b128 v[28:31], v255 offset:8320
	ds_read_b128 v[32:35], v255 offset:9360
	s_waitcnt vmcnt(1) lgkmcnt(1)
	v_mul_f64 v[39:40], v[30:31], v[18:19]
	v_mul_f64 v[18:19], v[28:29], v[18:19]
	v_fma_f64 v[28:29], v[28:29], v[16:17], -v[39:40]
	v_fma_f64 v[30:31], v[30:31], v[16:17], v[18:19]
	s_waitcnt vmcnt(0) lgkmcnt(0)
	v_mul_f64 v[16:17], v[34:35], v[26:27]
	v_mul_f64 v[18:19], v[32:33], v[26:27]
	v_add_co_u32 v39, s0, 0x6000, v202
	v_add_co_ci_u32_e64 v40, s0, 0, v203, s0
	v_fma_f64 v[16:17], v[32:33], v[24:25], -v[16:17]
	v_fma_f64 v[18:19], v[34:35], v[24:25], v[18:19]
	s_clause 0x1
	global_load_dwordx4 v[24:27], v[37:38], off offset:1392
	global_load_dwordx4 v[32:35], v[39:40], off offset:384
	ds_read_b128 v[168:171], v255 offset:10400
	ds_read_b128 v[172:175], v255 offset:11440
	s_waitcnt vmcnt(1) lgkmcnt(1)
	v_mul_f64 v[37:38], v[170:171], v[26:27]
	v_mul_f64 v[26:27], v[168:169], v[26:27]
	v_fma_f64 v[168:169], v[168:169], v[24:25], -v[37:38]
	v_fma_f64 v[170:171], v[170:171], v[24:25], v[26:27]
	s_waitcnt vmcnt(0) lgkmcnt(0)
	v_mul_f64 v[24:25], v[174:175], v[34:35]
	v_mul_f64 v[26:27], v[172:173], v[34:35]
	v_fma_f64 v[24:25], v[172:173], v[32:33], -v[24:25]
	v_fma_f64 v[26:27], v[174:175], v[32:33], v[26:27]
	global_load_dwordx4 v[32:35], v[39:40], off offset:1424
	ds_read_b128 v[172:175], v255 offset:12480
	s_waitcnt vmcnt(0) lgkmcnt(0)
	v_mul_f64 v[37:38], v[174:175], v[34:35]
	v_mul_f64 v[34:35], v[172:173], v[34:35]
	v_fma_f64 v[172:173], v[172:173], v[32:33], -v[37:38]
	v_fma_f64 v[174:175], v[174:175], v[32:33], v[34:35]
	ds_write_b128 v255, v[156:159]
	ds_write_b128 v255, v[160:163] offset:1040
	ds_write_b128 v255, v[164:167] offset:2080
	;; [unrolled: 1-line block ×12, first 2 shown]
	s_waitcnt lgkmcnt(0)
	s_barrier
	buffer_gl0_inv
	ds_read_b128 v[156:159], v255
	ds_read_b128 v[160:163], v255 offset:1040
	ds_read_b128 v[164:167], v255 offset:2080
	;; [unrolled: 1-line block ×9, first 2 shown]
	s_waitcnt lgkmcnt(8)
	v_add_f64 v[0:1], v[156:157], v[160:161]
	v_add_f64 v[2:3], v[158:159], v[162:163]
	s_waitcnt lgkmcnt(1)
	v_add_f64 v[26:27], v[178:179], v[10:11]
	v_add_f64 v[190:191], v[178:179], -v[10:11]
	s_waitcnt lgkmcnt(0)
	v_add_f64 v[192:193], v[174:175], v[14:15]
	v_add_f64 v[194:195], v[174:175], -v[14:15]
	v_add_f64 v[188:189], v[182:183], v[186:187]
	v_add_f64 v[24:25], v[182:183], -v[186:187]
	v_add_f64 v[0:1], v[0:1], v[164:165]
	v_add_f64 v[2:3], v[2:3], v[166:167]
	v_mul_f64 v[235:236], v[26:27], s[26:27]
	v_mul_f64 v[233:234], v[190:191], s[34:35]
	;; [unrolled: 1-line block ×5, first 2 shown]
	v_add_f64 v[0:1], v[0:1], v[168:169]
	v_add_f64 v[2:3], v[2:3], v[170:171]
	;; [unrolled: 1-line block ×9, first 2 shown]
	v_add_f64 v[2:3], v[180:181], -v[184:185]
	v_add_f64 v[16:17], v[4:5], v[184:185]
	v_add_f64 v[18:19], v[6:7], v[186:187]
	;; [unrolled: 1-line block ×3, first 2 shown]
	v_add_f64 v[6:7], v[176:177], -v[8:9]
	v_mul_f64 v[184:185], v[190:191], s[6:7]
	v_mul_f64 v[186:187], v[26:27], s[16:17]
	v_add_f64 v[16:17], v[16:17], v[8:9]
	v_add_f64 v[18:19], v[18:19], v[10:11]
	;; [unrolled: 1-line block ×3, first 2 shown]
	v_add_f64 v[10:11], v[172:173], -v[12:13]
	v_add_f64 v[28:29], v[16:17], v[12:13]
	v_add_f64 v[30:31], v[18:19], v[14:15]
	ds_read_b128 v[16:19], v255 offset:10400
	ds_read_b128 v[20:23], v255 offset:11440
	s_waitcnt lgkmcnt(1)
	v_add_f64 v[12:13], v[168:169], v[16:17]
	v_add_f64 v[28:29], v[28:29], v[16:17]
	;; [unrolled: 1-line block ×4, first 2 shown]
	v_add_f64 v[14:15], v[168:169], -v[16:17]
	v_add_f64 v[198:199], v[170:171], -v[18:19]
	s_waitcnt lgkmcnt(0)
	v_add_f64 v[16:17], v[164:165], v[20:21]
	v_add_f64 v[200:201], v[166:167], v[22:23]
	v_add_f64 v[18:19], v[164:165], -v[20:21]
	v_add_f64 v[202:203], v[166:167], -v[22:23]
	v_add_f64 v[28:29], v[28:29], v[20:21]
	v_add_f64 v[30:31], v[30:31], v[22:23]
	ds_read_b128 v[20:23], v255 offset:12480
	s_waitcnt lgkmcnt(0)
	s_barrier
	buffer_gl0_inv
	v_add_f64 v[32:33], v[162:163], -v[22:23]
	v_add_f64 v[37:38], v[162:163], v[22:23]
	v_add_f64 v[34:35], v[160:161], v[20:21]
	v_add_f64 v[39:40], v[160:161], -v[20:21]
	v_add_f64 v[164:165], v[28:29], v[20:21]
	v_add_f64 v[166:167], v[30:31], v[22:23]
	v_mul_f64 v[20:21], v[32:33], s[30:31]
	v_mul_f64 v[22:23], v[32:33], s[18:19]
	;; [unrolled: 1-line block ×8, first 2 shown]
	v_fma_f64 v[43:44], v[34:35], s[28:29], v[20:21]
	v_fma_f64 v[20:21], v[34:35], s[28:29], -v[20:21]
	v_fma_f64 v[45:46], v[34:35], s[24:25], v[22:23]
	v_fma_f64 v[47:48], v[34:35], s[24:25], -v[22:23]
	;; [unrolled: 2-line block ×6, first 2 shown]
	v_mul_f64 v[22:23], v[37:38], s[28:29]
	v_mul_f64 v[32:33], v[37:38], s[24:25]
	;; [unrolled: 1-line block ×4, first 2 shown]
	v_fma_f64 v[178:179], v[39:40], s[40:41], v[168:169]
	v_fma_f64 v[168:169], v[39:40], s[14:15], v[168:169]
	;; [unrolled: 1-line block ×4, first 2 shown]
	v_add_f64 v[20:21], v[156:157], v[20:21]
	v_add_f64 v[45:46], v[156:157], v[45:46]
	;; [unrolled: 1-line block ×10, first 2 shown]
	v_fma_f64 v[172:173], v[39:40], s[36:37], v[22:23]
	v_fma_f64 v[22:23], v[39:40], s[30:31], v[22:23]
	;; [unrolled: 1-line block ×5, first 2 shown]
	v_add_f64 v[227:228], v[158:159], v[168:169]
	v_mul_f64 v[168:169], v[202:203], s[18:19]
	v_fma_f64 v[32:33], v[39:40], s[18:19], v[32:33]
	v_fma_f64 v[176:177], v[39:40], s[34:35], v[34:35]
	;; [unrolled: 1-line block ×3, first 2 shown]
	v_add_f64 v[39:40], v[156:157], v[43:44]
	v_add_f64 v[231:232], v[158:159], v[170:171]
	v_mul_f64 v[170:171], v[200:201], s[24:25]
	v_add_f64 v[223:224], v[158:159], v[178:179]
	v_mul_f64 v[178:179], v[196:197], s[26:27]
	;; [unrolled: 2-line block ×3, first 2 shown]
	v_add_f64 v[43:44], v[158:159], v[172:173]
	v_add_f64 v[22:23], v[158:159], v[22:23]
	;; [unrolled: 1-line block ×4, first 2 shown]
	v_fma_f64 v[37:38], v[16:17], s[24:25], v[168:169]
	v_add_f64 v[215:216], v[158:159], v[32:33]
	v_add_f64 v[217:218], v[158:159], v[176:177]
	v_mul_f64 v[176:177], v[198:199], s[20:21]
	v_add_f64 v[32:33], v[158:159], v[182:183]
	v_mul_f64 v[182:183], v[192:193], s[22:23]
	v_add_f64 v[221:222], v[158:159], v[34:35]
	v_add_f64 v[34:35], v[156:157], v[160:161]
	v_mul_f64 v[156:157], v[198:199], s[2:3]
	v_add_f64 v[37:38], v[37:38], v[39:40]
	v_fma_f64 v[39:40], v[18:19], s[42:43], v[170:171]
	v_fma_f64 v[158:159], v[12:13], s[12:13], v[156:157]
	v_add_f64 v[39:40], v[39:40], v[43:44]
	v_fma_f64 v[43:44], v[12:13], s[26:27], v[176:177]
	v_add_f64 v[37:38], v[43:44], v[37:38]
	;; [unrolled: 2-line block ×8, first 2 shown]
	v_fma_f64 v[37:38], v[2:3], s[44:45], v[206:207]
	v_mul_f64 v[43:44], v[200:201], s[22:23]
	v_add_f64 v[174:175], v[37:38], v[39:40]
	v_mul_f64 v[37:38], v[202:203], s[14:15]
	v_fma_f64 v[39:40], v[16:17], s[22:23], v[37:38]
	v_fma_f64 v[37:38], v[16:17], s[22:23], -v[37:38]
	v_add_f64 v[39:40], v[39:40], v[45:46]
	v_fma_f64 v[45:46], v[18:19], s[40:41], v[43:44]
	v_add_f64 v[37:38], v[37:38], v[47:48]
	v_fma_f64 v[43:44], v[18:19], s[14:15], v[43:44]
	v_mul_f64 v[47:48], v[198:199], s[40:41]
	v_add_f64 v[39:40], v[158:159], v[39:40]
	v_mul_f64 v[158:159], v[196:197], s[12:13]
	v_add_f64 v[45:46], v[45:46], v[211:212]
	v_add_f64 v[43:44], v[43:44], v[215:216]
	v_fma_f64 v[160:161], v[14:15], s[44:45], v[158:159]
	v_add_f64 v[45:46], v[160:161], v[45:46]
	v_mul_f64 v[160:161], v[194:195], s[38:39]
	v_fma_f64 v[162:163], v[8:9], s[16:17], v[160:161]
	v_add_f64 v[39:40], v[162:163], v[39:40]
	v_mul_f64 v[162:163], v[192:193], s[16:17]
	v_fma_f64 v[211:212], v[10:11], s[6:7], v[162:163]
	v_add_f64 v[45:46], v[211:212], v[45:46]
	v_fma_f64 v[211:212], v[4:5], s[26:27], v[233:234]
	v_add_f64 v[39:40], v[211:212], v[39:40]
	;; [unrolled: 2-line block ×4, first 2 shown]
	v_mul_f64 v[39:40], v[188:189], s[28:29]
	v_fma_f64 v[213:214], v[2:3], s[30:31], v[39:40]
	v_fma_f64 v[39:40], v[2:3], s[36:37], v[39:40]
	v_add_f64 v[213:214], v[213:214], v[45:46]
	v_fma_f64 v[45:46], v[12:13], s[12:13], -v[156:157]
	v_add_f64 v[37:38], v[45:46], v[37:38]
	v_fma_f64 v[45:46], v[14:15], s[2:3], v[158:159]
	v_add_f64 v[43:44], v[45:46], v[43:44]
	v_fma_f64 v[45:46], v[8:9], s[16:17], -v[160:161]
	v_add_f64 v[37:38], v[45:46], v[37:38]
	v_fma_f64 v[45:46], v[10:11], s[38:39], v[162:163]
	v_add_f64 v[43:44], v[45:46], v[43:44]
	v_fma_f64 v[45:46], v[4:5], s[26:27], -v[233:234]
	v_mul_f64 v[233:234], v[190:191], s[18:19]
	v_add_f64 v[37:38], v[45:46], v[37:38]
	v_fma_f64 v[45:46], v[6:7], s[34:35], v[235:236]
	v_mul_f64 v[235:236], v[26:27], s[24:25]
	v_add_f64 v[43:44], v[45:46], v[43:44]
	v_fma_f64 v[45:46], v[0:1], s[28:29], -v[237:238]
	v_mul_f64 v[237:238], v[24:25], s[6:7]
	v_add_f64 v[162:163], v[39:40], v[43:44]
	v_add_f64 v[160:161], v[45:46], v[37:38]
	v_mul_f64 v[37:38], v[202:203], s[2:3]
	v_mul_f64 v[43:44], v[200:201], s[12:13]
	v_fma_f64 v[39:40], v[16:17], s[12:13], v[37:38]
	v_fma_f64 v[45:46], v[18:19], s[44:45], v[43:44]
	v_fma_f64 v[37:38], v[16:17], s[12:13], -v[37:38]
	v_fma_f64 v[43:44], v[18:19], s[2:3], v[43:44]
	v_add_f64 v[39:40], v[39:40], v[49:50]
	v_fma_f64 v[49:50], v[12:13], s[22:23], v[47:48]
	v_add_f64 v[45:46], v[45:46], v[217:218]
	v_add_f64 v[37:38], v[37:38], v[219:220]
	;; [unrolled: 1-line block ×4, first 2 shown]
	v_mul_f64 v[49:50], v[196:197], s[22:23]
	v_fma_f64 v[156:157], v[14:15], s[14:15], v[49:50]
	v_add_f64 v[45:46], v[156:157], v[45:46]
	v_mul_f64 v[156:157], v[194:195], s[36:37]
	v_fma_f64 v[158:159], v[8:9], s[28:29], v[156:157]
	v_add_f64 v[39:40], v[158:159], v[39:40]
	;; [unrolled: 3-line block ×3, first 2 shown]
	v_fma_f64 v[215:216], v[4:5], s[24:25], v[233:234]
	v_add_f64 v[39:40], v[215:216], v[39:40]
	v_fma_f64 v[215:216], v[6:7], s[42:43], v[235:236]
	v_add_f64 v[45:46], v[215:216], v[45:46]
	;; [unrolled: 2-line block ×3, first 2 shown]
	v_mul_f64 v[39:40], v[188:189], s[16:17]
	v_fma_f64 v[217:218], v[2:3], s[38:39], v[39:40]
	v_fma_f64 v[39:40], v[2:3], s[6:7], v[39:40]
	v_add_f64 v[217:218], v[217:218], v[45:46]
	v_fma_f64 v[45:46], v[12:13], s[22:23], -v[47:48]
	v_mul_f64 v[47:48], v[198:199], s[36:37]
	v_add_f64 v[37:38], v[45:46], v[37:38]
	v_fma_f64 v[45:46], v[14:15], s[40:41], v[49:50]
	v_fma_f64 v[49:50], v[12:13], s[28:29], v[47:48]
	v_add_f64 v[43:44], v[45:46], v[43:44]
	v_fma_f64 v[45:46], v[8:9], s[28:29], -v[156:157]
	v_add_f64 v[37:38], v[45:46], v[37:38]
	v_fma_f64 v[45:46], v[10:11], s[36:37], v[158:159]
	v_add_f64 v[43:44], v[45:46], v[43:44]
	v_fma_f64 v[45:46], v[4:5], s[24:25], -v[233:234]
	v_mul_f64 v[233:234], v[190:191], s[44:45]
	v_add_f64 v[37:38], v[45:46], v[37:38]
	v_fma_f64 v[45:46], v[6:7], s[18:19], v[235:236]
	v_mul_f64 v[235:236], v[26:27], s[12:13]
	v_add_f64 v[43:44], v[45:46], v[43:44]
	v_fma_f64 v[45:46], v[0:1], s[16:17], -v[237:238]
	v_mul_f64 v[237:238], v[24:25], s[42:43]
	v_add_f64 v[158:159], v[39:40], v[43:44]
	v_add_f64 v[156:157], v[45:46], v[37:38]
	v_mul_f64 v[37:38], v[202:203], s[38:39]
	v_mul_f64 v[43:44], v[200:201], s[16:17]
	v_fma_f64 v[39:40], v[16:17], s[16:17], v[37:38]
	v_fma_f64 v[45:46], v[18:19], s[6:7], v[43:44]
	v_fma_f64 v[37:38], v[16:17], s[16:17], -v[37:38]
	v_fma_f64 v[43:44], v[18:19], s[38:39], v[43:44]
	v_add_f64 v[39:40], v[39:40], v[124:125]
	v_add_f64 v[45:46], v[45:46], v[223:224]
	v_mul_f64 v[223:224], v[192:193], s[26:27]
	v_add_f64 v[37:38], v[37:38], v[225:226]
	v_add_f64 v[43:44], v[43:44], v[227:228]
	;; [unrolled: 1-line block ×3, first 2 shown]
	v_mul_f64 v[49:50], v[196:197], s[28:29]
	v_fma_f64 v[124:125], v[14:15], s[30:31], v[49:50]
	v_add_f64 v[45:46], v[124:125], v[45:46]
	v_mul_f64 v[124:125], v[194:195], s[20:21]
	v_fma_f64 v[219:220], v[8:9], s[26:27], v[124:125]
	v_add_f64 v[39:40], v[219:220], v[39:40]
	v_fma_f64 v[219:220], v[10:11], s[34:35], v[223:224]
	v_add_f64 v[45:46], v[219:220], v[45:46]
	;; [unrolled: 2-line block ×5, first 2 shown]
	v_mul_f64 v[39:40], v[188:189], s[24:25]
	v_fma_f64 v[221:222], v[2:3], s[18:19], v[39:40]
	v_fma_f64 v[39:40], v[2:3], s[42:43], v[39:40]
	v_add_f64 v[221:222], v[221:222], v[45:46]
	v_fma_f64 v[45:46], v[12:13], s[28:29], -v[47:48]
	v_mul_f64 v[47:48], v[198:199], s[18:19]
	v_add_f64 v[37:38], v[45:46], v[37:38]
	v_fma_f64 v[45:46], v[14:15], s[36:37], v[49:50]
	v_fma_f64 v[49:50], v[12:13], s[24:25], v[47:48]
	v_add_f64 v[43:44], v[45:46], v[43:44]
	v_fma_f64 v[45:46], v[8:9], s[26:27], -v[124:125]
	v_add_f64 v[37:38], v[45:46], v[37:38]
	v_fma_f64 v[45:46], v[10:11], s[20:21], v[223:224]
	v_add_f64 v[43:44], v[45:46], v[43:44]
	v_fma_f64 v[45:46], v[4:5], s[12:13], -v[233:234]
	v_mul_f64 v[233:234], v[190:191], s[36:37]
	v_add_f64 v[37:38], v[45:46], v[37:38]
	v_fma_f64 v[45:46], v[6:7], s[44:45], v[235:236]
	v_mul_f64 v[235:236], v[26:27], s[28:29]
	v_add_f64 v[43:44], v[45:46], v[43:44]
	v_fma_f64 v[45:46], v[0:1], s[24:25], -v[237:238]
	v_mul_f64 v[237:238], v[24:25], s[14:15]
	v_add_f64 v[225:226], v[39:40], v[43:44]
	v_add_f64 v[223:224], v[45:46], v[37:38]
	v_mul_f64 v[37:38], v[202:203], s[34:35]
	v_mul_f64 v[43:44], v[200:201], s[26:27]
	v_fma_f64 v[39:40], v[16:17], s[26:27], v[37:38]
	v_fma_f64 v[45:46], v[18:19], s[20:21], v[43:44]
	v_fma_f64 v[37:38], v[16:17], s[26:27], -v[37:38]
	v_add_f64 v[39:40], v[39:40], v[126:127]
	v_add_f64 v[45:46], v[45:46], v[229:230]
	;; [unrolled: 1-line block ×3, first 2 shown]
	v_fma_f64 v[41:42], v[18:19], s[34:35], v[43:44]
	v_fma_f64 v[43:44], v[12:13], s[24:25], -v[47:48]
	v_add_f64 v[39:40], v[49:50], v[39:40]
	v_mul_f64 v[49:50], v[196:197], s[24:25]
	v_add_f64 v[41:42], v[41:42], v[231:232]
	v_add_f64 v[37:38], v[43:44], v[37:38]
	v_fma_f64 v[124:125], v[14:15], s[42:43], v[49:50]
	v_fma_f64 v[43:44], v[14:15], s[18:19], v[49:50]
	v_add_f64 v[45:46], v[124:125], v[45:46]
	v_mul_f64 v[124:125], v[194:195], s[44:45]
	v_add_f64 v[41:42], v[43:44], v[41:42]
	v_fma_f64 v[126:127], v[8:9], s[12:13], v[124:125]
	v_fma_f64 v[43:44], v[8:9], s[12:13], -v[124:125]
	v_add_f64 v[39:40], v[126:127], v[39:40]
	v_mul_f64 v[126:127], v[192:193], s[12:13]
	v_add_f64 v[37:38], v[43:44], v[37:38]
	v_fma_f64 v[227:228], v[10:11], s[2:3], v[126:127]
	v_fma_f64 v[43:44], v[10:11], s[44:45], v[126:127]
	v_mul_f64 v[126:127], v[188:189], s[26:27]
	v_add_f64 v[45:46], v[227:228], v[45:46]
	v_fma_f64 v[227:228], v[4:5], s[28:29], v[233:234]
	v_add_f64 v[41:42], v[43:44], v[41:42]
	v_fma_f64 v[43:44], v[4:5], s[28:29], -v[233:234]
	v_add_f64 v[39:40], v[227:228], v[39:40]
	v_fma_f64 v[227:228], v[6:7], s[30:31], v[235:236]
	v_add_f64 v[37:38], v[43:44], v[37:38]
	v_fma_f64 v[43:44], v[6:7], s[36:37], v[235:236]
	;; [unrolled: 2-line block ×3, first 2 shown]
	v_add_f64 v[41:42], v[43:44], v[41:42]
	v_fma_f64 v[43:44], v[0:1], s[22:23], -v[237:238]
	v_add_f64 v[227:228], v[227:228], v[39:40]
	v_mul_f64 v[39:40], v[188:189], s[22:23]
	v_add_f64 v[231:232], v[43:44], v[37:38]
	v_mul_f64 v[37:38], v[202:203], s[36:37]
	v_fma_f64 v[229:230], v[2:3], s[40:41], v[39:40]
	v_fma_f64 v[39:40], v[2:3], s[14:15], v[39:40]
	v_add_f64 v[229:230], v[229:230], v[45:46]
	v_add_f64 v[233:234], v[39:40], v[41:42]
	v_fma_f64 v[39:40], v[16:17], s[28:29], v[37:38]
	v_add_f64 v[34:35], v[39:40], v[34:35]
	v_mul_f64 v[39:40], v[200:201], s[28:29]
	v_fma_f64 v[41:42], v[18:19], s[30:31], v[39:40]
	v_add_f64 v[32:33], v[41:42], v[32:33]
	v_mul_f64 v[41:42], v[198:199], s[6:7]
	;; [unrolled: 3-line block ×8, first 2 shown]
	v_fma_f64 v[24:25], v[0:1], s[26:27], v[32:33]
	v_add_f64 v[24:25], v[24:25], v[34:35]
	v_fma_f64 v[34:35], v[2:3], s[20:21], v[126:127]
	v_add_f64 v[26:27], v[34:35], v[26:27]
	v_fma_f64 v[34:35], v[16:17], s[28:29], -v[37:38]
	v_fma_f64 v[16:17], v[16:17], s[24:25], -v[168:169]
	v_add_f64 v[30:31], v[34:35], v[30:31]
	v_fma_f64 v[34:35], v[18:19], s[36:37], v[39:40]
	v_fma_f64 v[18:19], v[18:19], s[18:19], v[170:171]
	v_add_f64 v[16:17], v[16:17], v[20:21]
	v_add_f64 v[28:29], v[34:35], v[28:29]
	v_fma_f64 v[34:35], v[12:13], s[16:17], -v[41:42]
	v_fma_f64 v[12:13], v[12:13], s[26:27], -v[176:177]
	v_add_f64 v[18:19], v[18:19], v[22:23]
	v_add_f64 v[30:31], v[34:35], v[30:31]
	v_fma_f64 v[34:35], v[14:15], s[6:7], v[43:44]
	v_fma_f64 v[14:15], v[14:15], s[20:21], v[178:179]
	v_add_f64 v[12:13], v[12:13], v[16:17]
	v_add_f64 v[28:29], v[34:35], v[28:29]
	v_fma_f64 v[34:35], v[8:9], s[24:25], -v[45:46]
	v_fma_f64 v[8:9], v[8:9], s[22:23], -v[180:181]
	v_add_f64 v[14:15], v[14:15], v[18:19]
	v_add_f64 v[30:31], v[34:35], v[30:31]
	v_fma_f64 v[34:35], v[10:11], s[42:43], v[47:48]
	v_fma_f64 v[10:11], v[10:11], s[14:15], v[182:183]
	v_add_f64 v[8:9], v[8:9], v[12:13]
	v_add_f64 v[28:29], v[34:35], v[28:29]
	v_fma_f64 v[34:35], v[4:5], s[22:23], -v[49:50]
	v_fma_f64 v[4:5], v[4:5], s[16:17], -v[184:185]
	v_add_f64 v[10:11], v[10:11], v[14:15]
	v_add_f64 v[30:31], v[34:35], v[30:31]
	v_fma_f64 v[34:35], v[6:7], s[14:15], v[124:125]
	v_fma_f64 v[6:7], v[6:7], s[6:7], v[186:187]
	v_add_f64 v[4:5], v[4:5], v[8:9]
	v_add_f64 v[34:35], v[34:35], v[28:29]
	v_fma_f64 v[28:29], v[0:1], s[26:27], -v[32:33]
	v_fma_f64 v[32:33], v[2:3], s[34:35], v[126:127]
	v_fma_f64 v[0:1], v[0:1], s[12:13], -v[204:205]
	v_fma_f64 v[2:3], v[2:3], s[2:3], v[206:207]
	v_add_f64 v[6:7], v[6:7], v[10:11]
	v_add_f64 v[28:29], v[28:29], v[30:31]
	;; [unrolled: 1-line block ×5, first 2 shown]
	ds_write_b128 v209, v[172:175] offset:16
	ds_write_b128 v209, v[211:214] offset:32
	;; [unrolled: 1-line block ×12, first 2 shown]
	ds_write_b128 v209, v[164:167]
	s_waitcnt lgkmcnt(0)
	s_barrier
	buffer_gl0_inv
	ds_read_b128 v[172:175], v255
	ds_read_b128 v[164:167], v255 offset:1040
	ds_read_b128 v[192:195], v255 offset:2704
	;; [unrolled: 1-line block ×9, first 2 shown]
	s_and_saveexec_b32 s0, vcc_lo
	s_cbranch_execz .LBB0_7
; %bb.6:
	ds_read_b128 v[156:159], v255 offset:2080
	ds_read_b128 v[160:163], v255 offset:4784
	;; [unrolled: 1-line block ×4, first 2 shown]
	s_waitcnt lgkmcnt(0)
	buffer_store_dword v0, off, s[48:51], 0 ; 4-byte Folded Spill
	buffer_store_dword v1, off, s[48:51], 0 offset:4 ; 4-byte Folded Spill
	buffer_store_dword v2, off, s[48:51], 0 offset:8 ; 4-byte Folded Spill
	;; [unrolled: 1-line block ×3, first 2 shown]
	ds_read_b128 v[128:131], v255 offset:12896
.LBB0_7:
	s_or_b32 exec_lo, exec_lo, s0
	s_waitcnt lgkmcnt(7)
	v_mul_f64 v[0:1], v[94:95], v[194:195]
	s_waitcnt lgkmcnt(5)
	v_mul_f64 v[4:5], v[90:91], v[202:203]
	v_mul_f64 v[6:7], v[90:91], v[200:201]
	s_waitcnt lgkmcnt(3)
	v_mul_f64 v[8:9], v[86:87], v[198:199]
	s_waitcnt lgkmcnt(1)
	v_mul_f64 v[12:13], v[98:99], v[206:207]
	v_mul_f64 v[14:15], v[86:87], v[196:197]
	v_mul_f64 v[2:3], v[94:95], v[192:193]
	v_mul_f64 v[10:11], v[98:99], v[204:205]
	v_mul_f64 v[16:17], v[70:71], v[178:179]
	s_waitcnt lgkmcnt(0)
	v_mul_f64 v[26:27], v[74:75], v[190:191]
	v_mul_f64 v[18:19], v[78:79], v[182:183]
	;; [unrolled: 1-line block ×7, first 2 shown]
	s_mov_b32 s2, 0x134454ff
	s_mov_b32 s3, 0xbfee6f0e
	;; [unrolled: 1-line block ×6, first 2 shown]
	v_fma_f64 v[0:1], v[92:93], v[192:193], v[0:1]
	v_fma_f64 v[4:5], v[88:89], v[200:201], v[4:5]
	v_fma_f64 v[6:7], v[88:89], v[202:203], -v[6:7]
	v_fma_f64 v[8:9], v[84:85], v[196:197], v[8:9]
	v_fma_f64 v[12:13], v[96:97], v[204:205], v[12:13]
	v_fma_f64 v[14:15], v[84:85], v[198:199], -v[14:15]
	v_fma_f64 v[2:3], v[92:93], v[194:195], -v[2:3]
	;; [unrolled: 1-line block ×3, first 2 shown]
	v_fma_f64 v[16:17], v[68:69], v[176:177], v[16:17]
	v_fma_f64 v[26:27], v[72:73], v[188:189], v[26:27]
	;; [unrolled: 1-line block ×4, first 2 shown]
	v_fma_f64 v[24:25], v[76:77], v[182:183], -v[24:25]
	v_fma_f64 v[28:29], v[80:81], v[186:187], -v[28:29]
	;; [unrolled: 1-line block ×4, first 2 shown]
	s_mov_b32 s7, 0x3fe2cf23
	s_mov_b32 s6, s0
	;; [unrolled: 1-line block ×4, first 2 shown]
	s_waitcnt_vscnt null, 0x0
	s_barrier
	v_add_f64 v[32:33], v[172:173], v[0:1]
	v_add_f64 v[43:44], v[0:1], -v[4:5]
	v_add_f64 v[49:50], v[4:5], -v[0:1]
	v_add_f64 v[34:35], v[4:5], v[8:9]
	v_add_f64 v[39:40], v[0:1], v[12:13]
	;; [unrolled: 1-line block ×5, first 2 shown]
	v_add_f64 v[37:38], v[2:3], -v[10:11]
	v_add_f64 v[80:81], v[16:17], v[26:27]
	v_add_f64 v[41:42], v[6:7], -v[14:15]
	v_add_f64 v[74:75], v[18:19], v[20:21]
	;; [unrolled: 2-line block ×5, first 2 shown]
	v_add_f64 v[94:95], v[24:25], -v[28:29]
	v_add_f64 v[70:71], v[8:9], -v[12:13]
	v_add_f64 v[92:93], v[22:23], -v[30:31]
	v_add_f64 v[96:97], v[16:17], -v[18:19]
	v_add_f64 v[124:125], v[18:19], -v[16:17]
	v_add_f64 v[16:17], v[16:17], -v[26:27]
	v_add_f64 v[4:5], v[32:33], v[4:5]
	v_fma_f64 v[34:35], v[34:35], -0.5, v[172:173]
	v_fma_f64 v[39:40], v[39:40], -0.5, v[172:173]
	v_fma_f64 v[45:46], v[45:46], -0.5, v[174:175]
	v_add_f64 v[172:173], v[166:167], v[22:23]
	v_fma_f64 v[68:69], v[68:69], -0.5, v[174:175]
	v_add_f64 v[174:175], v[18:19], -v[20:21]
	v_fma_f64 v[80:81], v[80:81], -0.5, v[164:165]
	v_add_f64 v[78:79], v[2:3], -v[6:7]
	;; [unrolled: 2-line block ×3, first 2 shown]
	v_fma_f64 v[84:85], v[84:85], -0.5, v[166:167]
	v_add_f64 v[6:7], v[72:73], v[6:7]
	v_fma_f64 v[88:89], v[88:89], -0.5, v[166:167]
	v_add_f64 v[82:83], v[10:11], -v[14:15]
	v_add_f64 v[86:87], v[14:15], -v[10:11]
	v_add_f64 v[43:44], v[43:44], v[47:48]
	v_add_f64 v[176:177], v[22:23], -v[24:25]
	v_add_f64 v[22:23], v[24:25], -v[22:23]
	v_add_f64 v[18:19], v[90:91], v[18:19]
	;; [unrolled: 3-line block ×3, first 2 shown]
	v_fma_f64 v[166:167], v[37:38], s[2:3], v[34:35]
	v_fma_f64 v[34:35], v[37:38], s[12:13], v[34:35]
	v_fma_f64 v[178:179], v[41:42], s[12:13], v[39:40]
	v_fma_f64 v[39:40], v[41:42], s[2:3], v[39:40]
	v_fma_f64 v[72:73], v[0:1], s[12:13], v[45:46]
	v_fma_f64 v[47:48], v[76:77], s[2:3], v[68:69]
	v_fma_f64 v[68:69], v[76:77], s[12:13], v[68:69]
	v_fma_f64 v[45:46], v[0:1], s[2:3], v[45:46]
	v_add_f64 v[24:25], v[172:173], v[24:25]
	v_fma_f64 v[90:91], v[94:95], s[12:13], v[80:81]
	v_fma_f64 v[70:71], v[92:93], s[2:3], v[74:75]
	v_add_f64 v[4:5], v[4:5], v[8:9]
	v_fma_f64 v[8:9], v[94:95], s[2:3], v[80:81]
	v_fma_f64 v[80:81], v[16:17], s[12:13], v[84:85]
	v_add_f64 v[126:127], v[20:21], -v[26:27]
	v_add_f64 v[164:165], v[28:29], -v[30:31]
	v_fma_f64 v[74:75], v[92:93], s[12:13], v[74:75]
	v_fma_f64 v[172:173], v[174:175], s[2:3], v[88:89]
	;; [unrolled: 1-line block ×4, first 2 shown]
	v_add_f64 v[6:7], v[6:7], v[14:15]
	v_add_f64 v[20:21], v[18:19], v[20:21]
	v_fma_f64 v[166:167], v[41:42], s[0:1], v[166:167]
	v_fma_f64 v[34:35], v[41:42], s[6:7], v[34:35]
	;; [unrolled: 1-line block ×5, first 2 shown]
	v_add_f64 v[39:40], v[78:79], v[82:83]
	v_fma_f64 v[47:48], v[0:1], s[6:7], v[47:48]
	v_add_f64 v[72:73], v[2:3], v[86:87]
	v_fma_f64 v[68:69], v[0:1], s[0:1], v[68:69]
	v_fma_f64 v[45:46], v[76:77], s[0:1], v[45:46]
	;; [unrolled: 1-line block ×3, first 2 shown]
	v_add_f64 v[90:91], v[24:25], v[28:29]
	v_fma_f64 v[70:71], v[94:95], s[0:1], v[70:71]
	v_add_f64 v[76:77], v[96:97], v[98:99]
	v_fma_f64 v[86:87], v[92:93], s[6:7], v[8:9]
	v_fma_f64 v[80:81], v[174:175], s[6:7], v[80:81]
	v_add_f64 v[92:93], v[176:177], v[32:33]
	v_fma_f64 v[74:75], v[94:95], s[6:7], v[74:75]
	v_add_f64 v[82:83], v[124:125], v[126:127]
	;; [unrolled: 2-line block ×3, first 2 shown]
	v_fma_f64 v[88:89], v[16:17], s[0:1], v[88:89]
	v_fma_f64 v[84:85], v[174:175], s[0:1], v[84:85]
	v_add_f64 v[0:1], v[4:5], v[12:13]
	v_add_f64 v[2:3], v[6:7], v[10:11]
	v_fma_f64 v[4:5], v[43:44], s[14:15], v[166:167]
	v_fma_f64 v[12:13], v[49:50], s[14:15], v[41:42]
	;; [unrolled: 1-line block ×8, first 2 shown]
	v_add_f64 v[20:21], v[20:21], v[26:27]
	v_add_f64 v[22:23], v[90:91], v[30:31]
	v_fma_f64 v[24:25], v[76:77], s[14:15], v[70:71]
	buffer_gl0_inv
	v_fma_f64 v[26:27], v[92:93], s[14:15], v[80:81]
	v_fma_f64 v[28:29], v[76:77], s[14:15], v[74:75]
	;; [unrolled: 1-line block ×7, first 2 shown]
	ds_write_b128 v36, v[0:3]
	ds_write_b128 v36, v[4:7] offset:208
	ds_write_b128 v36, v[12:15] offset:416
	;; [unrolled: 1-line block ×4, first 2 shown]
	ds_write_b128 v210, v[20:23]
	ds_write_b128 v210, v[24:27] offset:208
	ds_write_b128 v210, v[32:35] offset:416
	;; [unrolled: 1-line block ×4, first 2 shown]
	s_and_saveexec_b32 s16, vcc_lo
	s_cbranch_execz .LBB0_9
; %bb.8:
	s_clause 0x3
	buffer_load_dword v16, off, s[48:51], 0
	buffer_load_dword v17, off, s[48:51], 0 offset:4
	buffer_load_dword v18, off, s[48:51], 0 offset:8
	;; [unrolled: 1-line block ×3, first 2 shown]
	v_mul_f64 v[0:1], v[66:67], v[168:169]
	v_mul_f64 v[2:3], v[54:55], v[160:161]
	;; [unrolled: 1-line block ×6, first 2 shown]
	v_fma_f64 v[0:1], v[64:65], v[170:171], -v[0:1]
	v_fma_f64 v[2:3], v[52:53], v[162:163], -v[2:3]
	;; [unrolled: 1-line block ×3, first 2 shown]
	v_fma_f64 v[8:9], v[64:65], v[168:169], v[8:9]
	v_fma_f64 v[12:13], v[52:53], v[160:161], v[12:13]
	;; [unrolled: 1-line block ×3, first 2 shown]
	v_mov_b32_e32 v52, v51
	v_add_f64 v[28:29], v[158:159], v[2:3]
	v_add_f64 v[32:33], v[2:3], -v[4:5]
	v_add_f64 v[36:37], v[0:1], -v[2:3]
	v_add_f64 v[30:31], v[156:157], v[12:13]
	v_add_f64 v[26:27], v[12:13], -v[14:15]
	v_add_f64 v[22:23], v[12:13], v[14:15]
	v_add_f64 v[42:43], v[8:9], -v[12:13]
	v_add_f64 v[12:13], v[12:13], -v[8:9]
	v_fma_f64 v[22:23], v[22:23], -0.5, v[156:157]
	s_waitcnt vmcnt(2)
	v_mul_f64 v[6:7], v[62:63], v[16:17]
	s_waitcnt vmcnt(0)
	v_mul_f64 v[10:11], v[62:63], v[18:19]
	v_fma_f64 v[6:7], v[60:61], v[18:19], -v[6:7]
	v_fma_f64 v[10:11], v[60:61], v[16:17], v[10:11]
	v_add_f64 v[16:17], v[2:3], v[4:5]
	v_add_f64 v[2:3], v[2:3], -v[0:1]
	v_add_f64 v[18:19], v[0:1], v[6:7]
	v_add_f64 v[20:21], v[8:9], v[10:11]
	v_add_f64 v[24:25], v[8:9], -v[10:11]
	v_fma_f64 v[16:17], v[16:17], -0.5, v[158:159]
	v_add_f64 v[34:35], v[0:1], -v[6:7]
	v_add_f64 v[38:39], v[6:7], -v[4:5]
	;; [unrolled: 1-line block ×4, first 2 shown]
	v_add_f64 v[0:1], v[28:29], v[0:1]
	v_add_f64 v[8:9], v[30:31], v[8:9]
	v_add_f64 v[44:45], v[10:11], -v[14:15]
	v_fma_f64 v[18:19], v[18:19], -0.5, v[158:159]
	v_fma_f64 v[20:21], v[20:21], -0.5, v[156:157]
	v_fma_f64 v[28:29], v[24:25], s[12:13], v[16:17]
	v_fma_f64 v[16:17], v[24:25], s[2:3], v[16:17]
	v_add_f64 v[36:37], v[36:37], v[38:39]
	v_add_f64 v[38:39], v[2:3], v[40:41]
	;; [unrolled: 1-line block ×5, first 2 shown]
	v_fma_f64 v[50:51], v[34:35], s[12:13], v[22:23]
	v_fma_f64 v[22:23], v[34:35], s[2:3], v[22:23]
	v_add_f64 v[40:41], v[42:43], v[44:45]
	v_fma_f64 v[30:31], v[26:27], s[2:3], v[18:19]
	v_fma_f64 v[18:19], v[26:27], s[12:13], v[18:19]
	;; [unrolled: 1-line block ×6, first 2 shown]
	v_mov_b32_e32 v28, 0x41
	v_add_f64 v[2:3], v[0:1], v[4:5]
	v_add_f64 v[0:1], v[6:7], v[14:15]
	v_fma_f64 v[26:27], v[32:33], s[0:1], v[50:51]
	v_fma_f64 v[22:23], v[32:33], s[6:7], v[22:23]
	;; [unrolled: 1-line block ×14, first 2 shown]
	s_clause 0x1
	buffer_load_dword v20, off, s[48:51], 0 offset:228
	buffer_load_dword v21, off, s[48:51], 0 offset:232
	s_waitcnt vmcnt(1)
	v_mul_u32_u24_sdwa v20, v20, v28 dst_sel:DWORD dst_unused:UNUSED_PAD src0_sel:WORD_0 src1_sel:DWORD
	s_waitcnt vmcnt(0)
	v_add_nc_u32_sdwa v20, v20, v21 dst_sel:DWORD dst_unused:UNUSED_PAD src0_sel:DWORD src1_sel:BYTE_0
	v_lshl_add_u32 v20, v20, 4, v52
	ds_write_b128 v20, v[0:3]
	ds_write_b128 v20, v[16:19] offset:208
	ds_write_b128 v20, v[8:11] offset:416
	;; [unrolled: 1-line block ×4, first 2 shown]
.LBB0_9:
	s_or_b32 exec_lo, exec_lo, s16
	s_waitcnt lgkmcnt(0)
	s_barrier
	buffer_gl0_inv
	ds_read_b128 v[0:3], v255 offset:1040
	ds_read_b128 v[52:55], v255
	ds_read_b128 v[4:7], v255 offset:2080
	ds_read_b128 v[8:11], v255 offset:3120
	;; [unrolled: 1-line block ×11, first 2 shown]
	s_mov_b32 s2, 0x4267c47c
	s_mov_b32 s6, 0xe00740e9
	;; [unrolled: 1-line block ×9, first 2 shown]
	s_waitcnt lgkmcnt(10)
	v_mul_f64 v[44:45], v[114:115], v[6:7]
	s_waitcnt lgkmcnt(9)
	v_mul_f64 v[48:49], v[106:107], v[8:9]
	v_mul_f64 v[46:47], v[106:107], v[10:11]
	s_waitcnt lgkmcnt(8)
	v_mul_f64 v[68:69], v[102:103], v[12:13]
	;; [unrolled: 3-line block ×3, first 2 shown]
	s_waitcnt lgkmcnt(4)
	v_mul_f64 v[90:91], v[138:139], v[28:29]
	s_waitcnt lgkmcnt(3)
	v_mul_f64 v[80:81], v[142:143], v[32:33]
	v_mul_f64 v[40:41], v[122:123], v[2:3]
	;; [unrolled: 1-line block ×3, first 2 shown]
	s_waitcnt lgkmcnt(0)
	v_mul_f64 v[64:65], v[154:155], v[62:63]
	v_mul_f64 v[72:73], v[146:147], v[36:37]
	;; [unrolled: 1-line block ×9, first 2 shown]
	s_mov_b32 s20, 0xebaa3ed8
	s_mov_b32 s24, 0x2ef20147
	;; [unrolled: 1-line block ×4, first 2 shown]
	v_fma_f64 v[10:11], v[104:105], v[10:11], -v[48:49]
	v_fma_f64 v[8:9], v[104:105], v[8:9], v[46:47]
	v_mul_f64 v[46:47], v[150:151], v[56:57]
	v_fma_f64 v[14:15], v[100:101], v[14:15], -v[68:69]
	v_fma_f64 v[12:13], v[100:101], v[12:13], v[50:51]
	s_mov_b32 s36, 0xd0032e0c
	v_fma_f64 v[34:35], v[140:141], v[34:35], -v[80:81]
	v_fma_f64 v[40:41], v[120:121], v[0:1], v[40:41]
	v_mul_f64 v[0:1], v[114:115], v[4:5]
	v_fma_f64 v[2:3], v[120:121], v[2:3], -v[42:43]
	v_fma_f64 v[42:43], v[112:113], v[4:5], v[44:45]
	v_mul_f64 v[44:45], v[154:155], v[60:61]
	v_fma_f64 v[48:49], v[152:153], v[60:61], v[64:65]
	v_fma_f64 v[38:39], v[144:145], v[38:39], -v[72:73]
	v_fma_f64 v[16:17], v[108:109], v[16:17], v[74:75]
	v_fma_f64 v[18:19], v[108:109], v[18:19], -v[76:77]
	v_fma_f64 v[36:37], v[144:145], v[36:37], v[70:71]
	s_mov_b32 s34, 0x4bc48dbf
	s_mov_b32 s40, 0x93053d00
	;; [unrolled: 1-line block ×7, first 2 shown]
	v_fma_f64 v[46:47], v[148:149], v[58:59], -v[46:47]
	s_mov_b32 s29, 0x3fedeba7
	s_mov_b32 s31, 0xbfe5384d
	;; [unrolled: 1-line block ×3, first 2 shown]
	v_add_f64 v[72:73], v[14:15], v[34:35]
	v_add_f64 v[4:5], v[52:53], v[40:41]
	v_fma_f64 v[66:67], v[112:113], v[6:7], -v[0:1]
	v_add_f64 v[0:1], v[54:55], v[2:3]
	v_mul_f64 v[6:7], v[150:151], v[58:59]
	v_fma_f64 v[44:45], v[152:153], v[62:63], -v[44:45]
	v_mul_f64 v[62:63], v[134:135], v[26:27]
	v_add_f64 v[74:75], v[14:15], -v[34:35]
	s_mov_b32 s35, 0xbfcea1e5
	s_mov_b32 s41, 0xbfef11f4
	v_add_f64 v[64:65], v[8:9], v[36:37]
	v_add_f64 v[68:69], v[8:9], -v[36:37]
	s_mov_b32 s0, s2
	s_mov_b32 s28, s24
	v_fma_f64 v[32:33], v[140:141], v[32:33], v[78:79]
	s_mov_b32 s13, 0x3fea55e2
	s_mov_b32 s12, s14
	;; [unrolled: 1-line block ×7, first 2 shown]
	v_add_f64 v[4:5], v[4:5], v[42:43]
	v_add_f64 v[60:61], v[0:1], v[66:67]
	v_fma_f64 v[56:57], v[148:149], v[56:57], v[6:7]
	v_fma_f64 v[6:7], v[132:133], v[26:27], -v[86:87]
	v_fma_f64 v[26:27], v[136:137], v[30:31], -v[90:91]
	v_fma_f64 v[0:1], v[116:117], v[20:21], v[82:83]
	v_add_f64 v[20:21], v[2:3], -v[44:45]
	v_mul_f64 v[134:135], v[74:75], s[24:25]
	v_mul_f64 v[138:139], v[74:75], s[38:39]
	v_add_f64 v[70:71], v[12:13], v[32:33]
	v_add_f64 v[50:51], v[4:5], v[8:9]
	v_fma_f64 v[4:5], v[116:117], v[22:23], -v[84:85]
	v_add_f64 v[30:31], v[60:61], v[10:11]
	v_add_f64 v[22:23], v[2:3], v[44:45]
	v_fma_f64 v[2:3], v[132:133], v[24:25], v[62:63]
	v_fma_f64 v[24:25], v[136:137], v[28:29], v[88:89]
	v_add_f64 v[28:29], v[40:41], v[48:49]
	v_add_f64 v[40:41], v[40:41], -v[48:49]
	v_add_f64 v[60:61], v[66:67], v[46:47]
	v_add_f64 v[62:63], v[66:67], -v[46:47]
	;; [unrolled: 2-line block ×3, first 2 shown]
	v_mul_f64 v[10:11], v[20:21], s[2:3]
	v_mul_f64 v[78:79], v[20:21], s[14:15]
	v_add_f64 v[58:59], v[42:43], v[56:57]
	v_add_f64 v[42:43], v[42:43], -v[56:57]
	v_mul_f64 v[82:83], v[20:21], s[18:19]
	v_mul_f64 v[86:87], v[20:21], s[24:25]
	;; [unrolled: 1-line block ×5, first 2 shown]
	v_add_f64 v[50:51], v[50:51], v[12:13]
	v_add_f64 v[12:13], v[12:13], -v[32:33]
	v_add_f64 v[14:15], v[30:31], v[14:15]
	v_mul_f64 v[76:77], v[22:23], s[6:7]
	v_mul_f64 v[80:81], v[22:23], s[16:17]
	;; [unrolled: 1-line block ×14, first 2 shown]
	v_fma_f64 v[8:9], v[28:29], s[6:7], v[10:11]
	v_fma_f64 v[10:11], v[28:29], s[6:7], -v[10:11]
	v_mul_f64 v[96:97], v[62:63], s[24:25]
	v_mul_f64 v[98:99], v[60:61], s[26:27]
	v_fma_f64 v[142:143], v[28:29], s[16:17], v[78:79]
	v_add_f64 v[50:51], v[50:51], v[16:17]
	v_fma_f64 v[78:79], v[28:29], s[16:17], -v[78:79]
	v_add_f64 v[14:15], v[14:15], v[18:19]
	v_fma_f64 v[140:141], v[40:41], s[0:1], v[76:77]
	v_fma_f64 v[76:77], v[40:41], s[2:3], v[76:77]
	;; [unrolled: 1-line block ×4, first 2 shown]
	v_mul_f64 v[100:101], v[62:63], s[34:35]
	v_mul_f64 v[102:103], v[60:61], s[40:41]
	;; [unrolled: 1-line block ×6, first 2 shown]
	v_fma_f64 v[146:147], v[28:29], s[20:21], v[82:83]
	v_fma_f64 v[148:149], v[40:41], s[22:23], v[84:85]
	v_fma_f64 v[82:83], v[28:29], s[20:21], -v[82:83]
	v_fma_f64 v[84:85], v[40:41], s[18:19], v[84:85]
	v_fma_f64 v[150:151], v[28:29], s[26:27], v[86:87]
	;; [unrolled: 1-line block ×3, first 2 shown]
	v_fma_f64 v[86:87], v[28:29], s[26:27], -v[86:87]
	v_fma_f64 v[30:31], v[40:41], s[24:25], v[30:31]
	v_fma_f64 v[154:155], v[28:29], s[36:37], v[88:89]
	v_add_f64 v[50:51], v[50:51], v[0:1]
	v_fma_f64 v[156:157], v[40:41], s[38:39], v[90:91]
	v_add_f64 v[14:15], v[14:15], v[4:5]
	v_fma_f64 v[88:89], v[28:29], s[36:37], -v[88:89]
	v_fma_f64 v[90:91], v[40:41], s[30:31], v[90:91]
	v_fma_f64 v[158:159], v[28:29], s[40:41], v[20:21]
	;; [unrolled: 1-line block ×3, first 2 shown]
	v_fma_f64 v[20:21], v[28:29], s[40:41], -v[20:21]
	v_fma_f64 v[22:23], v[40:41], s[34:35], v[22:23]
	v_fma_f64 v[28:29], v[58:59], s[16:17], v[92:93]
	;; [unrolled: 1-line block ×3, first 2 shown]
	v_fma_f64 v[92:93], v[58:59], s[16:17], -v[92:93]
	v_add_f64 v[8:9], v[52:53], v[8:9]
	v_add_f64 v[140:141], v[54:55], v[140:141]
	;; [unrolled: 1-line block ×3, first 2 shown]
	v_mul_f64 v[110:111], v[60:61], s[20:21]
	v_mul_f64 v[106:107], v[60:61], s[36:37]
	;; [unrolled: 1-line block ×4, first 2 shown]
	v_fma_f64 v[94:95], v[42:43], s[14:15], v[94:95]
	v_fma_f64 v[162:163], v[58:59], s[26:27], v[96:97]
	v_fma_f64 v[164:165], v[42:43], s[28:29], v[98:99]
	v_add_f64 v[50:51], v[50:51], v[2:3]
	v_fma_f64 v[96:97], v[58:59], s[26:27], -v[96:97]
	v_add_f64 v[14:15], v[14:15], v[6:7]
	v_fma_f64 v[98:99], v[42:43], s[24:25], v[98:99]
	v_add_f64 v[76:77], v[54:55], v[76:77]
	v_add_f64 v[78:79], v[52:53], v[78:79]
	;; [unrolled: 1-line block ×3, first 2 shown]
	v_mul_f64 v[122:123], v[66:67], s[26:27]
	v_fma_f64 v[166:167], v[58:59], s[40:41], v[100:101]
	v_fma_f64 v[168:169], v[42:43], s[42:43], v[102:103]
	v_fma_f64 v[100:101], v[58:59], s[40:41], -v[100:101]
	v_fma_f64 v[102:103], v[42:43], s[34:35], v[102:103]
	v_fma_f64 v[170:171], v[58:59], s[36:37], v[104:105]
	v_fma_f64 v[104:105], v[58:59], s[36:37], -v[104:105]
	v_fma_f64 v[174:175], v[58:59], s[20:21], v[108:109]
	v_fma_f64 v[108:109], v[58:59], s[20:21], -v[108:109]
	;; [unrolled: 2-line block ×3, first 2 shown]
	v_fma_f64 v[62:63], v[64:65], s[20:21], -v[112:113]
	v_add_f64 v[146:147], v[52:53], v[146:147]
	v_add_f64 v[148:149], v[54:55], v[148:149]
	;; [unrolled: 1-line block ×10, first 2 shown]
	v_mul_f64 v[130:131], v[66:67], s[16:17]
	v_fma_f64 v[176:177], v[42:43], s[18:19], v[110:111]
	v_add_f64 v[82:83], v[52:53], v[82:83]
	v_add_f64 v[86:87], v[52:53], v[86:87]
	;; [unrolled: 1-line block ×3, first 2 shown]
	v_mul_f64 v[126:127], v[66:67], s[6:7]
	v_fma_f64 v[172:173], v[42:43], s[30:31], v[106:107]
	v_add_f64 v[142:143], v[52:53], v[142:143]
	v_add_f64 v[152:153], v[54:55], v[152:153]
	v_mul_f64 v[66:67], v[66:67], s[36:37]
	v_fma_f64 v[106:107], v[42:43], s[38:39], v[106:107]
	v_fma_f64 v[110:111], v[42:43], s[22:23], v[110:111]
	;; [unrolled: 1-line block ×5, first 2 shown]
	v_add_f64 v[32:33], v[50:51], v[32:33]
	v_fma_f64 v[50:51], v[68:69], s[22:23], v[114:115]
	v_add_f64 v[14:15], v[14:15], v[34:35]
	v_fma_f64 v[182:183], v[68:69], s[42:43], v[118:119]
	v_fma_f64 v[118:119], v[68:69], s[34:35], v[118:119]
	v_add_f64 v[144:145], v[54:55], v[144:145]
	v_add_f64 v[22:23], v[54:55], v[22:23]
	;; [unrolled: 1-line block ×5, first 2 shown]
	v_fma_f64 v[112:113], v[68:69], s[18:19], v[114:115]
	v_fma_f64 v[114:115], v[64:65], s[40:41], v[116:117]
	v_fma_f64 v[116:117], v[64:65], s[40:41], -v[116:117]
	v_fma_f64 v[184:185], v[64:65], s[26:27], v[120:121]
	v_fma_f64 v[186:187], v[68:69], s[24:25], v[122:123]
	;; [unrolled: 1-line block ×4, first 2 shown]
	v_add_f64 v[80:81], v[166:167], v[146:147]
	v_add_f64 v[92:93], v[168:169], v[148:149]
	;; [unrolled: 1-line block ×13, first 2 shown]
	v_fma_f64 v[120:121], v[64:65], s[26:27], -v[120:121]
	v_fma_f64 v[194:195], v[68:69], s[12:13], v[130:131]
	v_add_f64 v[82:83], v[100:101], v[82:83]
	v_fma_f64 v[190:191], v[68:69], s[2:3], v[126:127]
	v_fma_f64 v[34:35], v[64:65], s[36:37], v[132:133]
	v_add_f64 v[154:155], v[52:53], v[154:155]
	v_add_f64 v[52:53], v[162:163], v[142:143]
	;; [unrolled: 1-line block ×3, first 2 shown]
	v_fma_f64 v[124:125], v[64:65], s[6:7], -v[124:125]
	v_fma_f64 v[192:193], v[64:65], s[16:17], v[128:129]
	v_fma_f64 v[128:129], v[64:65], s[16:17], -v[128:129]
	v_fma_f64 v[36:37], v[68:69], s[38:39], v[66:67]
	v_add_f64 v[30:31], v[54:55], v[30:31]
	v_add_f64 v[54:55], v[164:165], v[144:145]
	;; [unrolled: 1-line block ×10, first 2 shown]
	v_fma_f64 v[66:67], v[68:69], s[30:31], v[66:67]
	v_fma_f64 v[78:79], v[70:71], s[26:27], v[134:135]
	v_add_f64 v[98:99], v[180:181], v[158:159]
	v_add_f64 v[58:59], v[116:117], v[76:77]
	v_add_f64 v[62:63], v[184:185], v[80:81]
	v_add_f64 v[76:77], v[186:187], v[92:93]
	v_fma_f64 v[80:81], v[12:13], s[28:29], v[136:137]
	v_mul_f64 v[92:93], v[74:75], s[0:1]
	v_add_f64 v[40:41], v[112:113], v[40:41]
	v_fma_f64 v[126:127], v[68:69], s[0:1], v[126:127]
	v_fma_f64 v[130:131], v[68:69], s[14:15], v[130:131]
	v_add_f64 v[52:53], v[114:115], v[52:53]
	v_add_f64 v[68:69], v[190:191], v[96:97]
	v_mul_f64 v[96:97], v[74:75], s[18:19]
	v_add_f64 v[8:9], v[32:33], v[48:49]
	v_add_f64 v[32:33], v[122:123], v[84:85]
	;; [unrolled: 1-line block ×3, first 2 shown]
	v_fma_f64 v[44:45], v[64:65], s[36:37], -v[132:133]
	v_mul_f64 v[64:65], v[72:73], s[36:37]
	v_add_f64 v[48:49], v[188:189], v[94:95]
	v_fma_f64 v[84:85], v[70:71], s[26:27], -v[134:135]
	v_mul_f64 v[94:95], v[72:73], s[6:7]
	v_add_f64 v[14:15], v[120:121], v[82:83]
	v_add_f64 v[82:83], v[194:195], v[86:87]
	v_fma_f64 v[86:87], v[12:13], s[24:25], v[136:137]
	v_add_f64 v[34:35], v[34:35], v[90:91]
	v_fma_f64 v[90:91], v[70:71], s[36:37], v[138:139]
	v_add_f64 v[38:39], v[108:109], v[38:39]
	v_add_f64 v[88:89], v[110:111], v[88:89]
	;; [unrolled: 1-line block ×4, first 2 shown]
	v_fma_f64 v[66:67], v[70:71], s[36:37], -v[138:139]
	v_add_f64 v[36:37], v[36:37], v[98:99]
	v_mul_f64 v[98:99], v[72:73], s[20:21]
	v_add_f64 v[28:29], v[80:81], v[28:29]
	v_fma_f64 v[80:81], v[70:71], s[6:7], v[92:93]
	v_add_f64 v[102:103], v[16:17], v[24:25]
	v_add_f64 v[16:17], v[16:17], -v[24:25]
	v_add_f64 v[30:31], v[106:107], v[30:31]
	v_add_f64 v[20:21], v[44:45], v[20:21]
	v_add_f64 v[44:45], v[18:19], -v[26:27]
	v_add_f64 v[18:19], v[18:19], v[26:27]
	v_fma_f64 v[100:101], v[12:13], s[30:31], v[64:65]
	v_add_f64 v[26:27], v[78:79], v[42:43]
	v_mul_f64 v[42:43], v[74:75], s[42:43]
	v_fma_f64 v[64:65], v[12:13], s[38:39], v[64:65]
	v_mul_f64 v[78:79], v[72:73], s[40:41]
	v_add_f64 v[50:51], v[84:85], v[50:51]
	v_fma_f64 v[84:85], v[12:13], s[2:3], v[94:95]
	v_mul_f64 v[74:75], v[74:75], s[12:13]
	v_mul_f64 v[72:73], v[72:73], s[16:17]
	v_add_f64 v[40:41], v[86:87], v[40:41]
	v_fma_f64 v[86:87], v[70:71], s[6:7], -v[92:93]
	v_add_f64 v[52:53], v[90:91], v[52:53]
	v_fma_f64 v[90:91], v[70:71], s[20:21], v[96:97]
	v_add_f64 v[38:39], v[128:129], v[38:39]
	v_add_f64 v[88:89], v[130:131], v[88:89]
	v_fma_f64 v[92:93], v[12:13], s[0:1], v[94:95]
	v_add_f64 v[58:59], v[66:67], v[58:59]
	v_add_f64 v[56:57], v[174:175], v[154:155]
	v_fma_f64 v[94:95], v[12:13], s[22:23], v[98:99]
	v_fma_f64 v[96:97], v[70:71], s[20:21], -v[96:97]
	v_mul_f64 v[104:105], v[44:45], s[30:31]
	v_mul_f64 v[24:25], v[18:19], s[36:37]
	v_add_f64 v[54:55], v[100:101], v[54:55]
	v_fma_f64 v[98:99], v[12:13], s[18:19], v[98:99]
	v_fma_f64 v[100:101], v[70:71], s[40:41], v[42:43]
	v_add_f64 v[60:61], v[64:65], v[60:61]
	v_fma_f64 v[64:65], v[12:13], s[34:35], v[78:79]
	v_fma_f64 v[42:43], v[70:71], s[40:41], -v[42:43]
	v_fma_f64 v[66:67], v[12:13], s[42:43], v[78:79]
	v_add_f64 v[62:63], v[80:81], v[62:63]
	v_add_f64 v[76:77], v[84:85], v[76:77]
	v_fma_f64 v[78:79], v[70:71], s[16:17], v[74:75]
	v_fma_f64 v[80:81], v[12:13], s[14:15], v[72:73]
	v_fma_f64 v[70:71], v[70:71], s[16:17], -v[74:75]
	v_fma_f64 v[12:13], v[12:13], s[12:13], v[72:73]
	v_mul_f64 v[74:75], v[44:45], s[22:23]
	v_mul_f64 v[84:85], v[18:19], s[20:21]
	v_add_f64 v[14:15], v[86:87], v[14:15]
	v_add_f64 v[48:49], v[90:91], v[48:49]
	v_mul_f64 v[90:91], v[44:45], s[14:15]
	v_add_f64 v[32:33], v[92:93], v[32:33]
	v_mul_f64 v[92:93], v[18:19], s[16:17]
	v_fma_f64 v[72:73], v[102:103], s[36:37], v[104:105]
	v_fma_f64 v[86:87], v[16:17], s[38:39], v[24:25]
	v_add_f64 v[46:47], v[124:125], v[46:47]
	v_add_f64 v[30:31], v[126:127], v[30:31]
	v_fma_f64 v[24:25], v[16:17], s[30:31], v[24:25]
	v_add_f64 v[56:57], v[192:193], v[56:57]
	v_add_f64 v[64:65], v[64:65], v[82:83]
	v_add_f64 v[38:39], v[42:43], v[38:39]
	v_add_f64 v[42:43], v[66:67], v[88:89]
	v_fma_f64 v[66:67], v[102:103], s[36:37], -v[104:105]
	v_mul_f64 v[82:83], v[44:45], s[42:43]
	v_mul_f64 v[88:89], v[18:19], s[40:41]
	v_add_f64 v[34:35], v[78:79], v[34:35]
	v_add_f64 v[20:21], v[70:71], v[20:21]
	;; [unrolled: 1-line block ×3, first 2 shown]
	v_add_f64 v[22:23], v[4:5], -v[6:7]
	v_add_f64 v[4:5], v[4:5], v[6:7]
	v_fma_f64 v[70:71], v[16:17], s[18:19], v[84:85]
	v_mul_f64 v[78:79], v[44:45], s[0:1]
	v_add_f64 v[36:37], v[80:81], v[36:37]
	v_fma_f64 v[80:81], v[102:103], s[16:17], v[90:91]
	v_fma_f64 v[90:91], v[102:103], s[16:17], -v[90:91]
	v_add_f64 v[6:7], v[72:73], v[26:27]
	v_fma_f64 v[26:27], v[102:103], s[20:21], v[74:75]
	v_fma_f64 v[72:73], v[102:103], s[20:21], -v[74:75]
	v_add_f64 v[28:29], v[86:87], v[28:29]
	v_mul_f64 v[86:87], v[18:19], s[6:7]
	v_fma_f64 v[74:75], v[16:17], s[22:23], v[84:85]
	v_fma_f64 v[84:85], v[16:17], s[12:13], v[92:93]
	;; [unrolled: 1-line block ×3, first 2 shown]
	v_mul_f64 v[18:19], v[18:19], s[26:27]
	v_add_f64 v[50:51], v[66:67], v[50:51]
	v_fma_f64 v[66:67], v[102:103], s[40:41], v[82:83]
	v_add_f64 v[68:69], v[94:95], v[68:69]
	v_add_f64 v[46:47], v[96:97], v[46:47]
	;; [unrolled: 1-line block ×3, first 2 shown]
	v_fma_f64 v[94:95], v[16:17], s[34:35], v[88:89]
	v_add_f64 v[40:41], v[24:25], v[40:41]
	v_mul_f64 v[24:25], v[44:45], s[24:25]
	v_add_f64 v[44:45], v[0:1], v[2:3]
	v_add_f64 v[96:97], v[0:1], -v[2:3]
	v_fma_f64 v[2:3], v[16:17], s[42:43], v[88:89]
	v_add_f64 v[56:57], v[100:101], v[56:57]
	v_mul_f64 v[100:101], v[4:5], s[40:41]
	v_mul_f64 v[98:99], v[22:23], s[34:35]
	v_add_f64 v[26:27], v[26:27], v[52:53]
	v_add_f64 v[52:53], v[70:71], v[54:55]
	;; [unrolled: 1-line block ×3, first 2 shown]
	v_fma_f64 v[58:59], v[102:103], s[6:7], v[78:79]
	v_fma_f64 v[72:73], v[16:17], s[2:3], v[86:87]
	v_add_f64 v[70:71], v[74:75], v[60:61]
	v_add_f64 v[74:75], v[90:91], v[14:15]
	v_fma_f64 v[14:15], v[102:103], s[6:7], -v[78:79]
	v_fma_f64 v[0:1], v[102:103], s[40:41], -v[82:83]
	v_add_f64 v[60:61], v[80:81], v[62:63]
	v_add_f64 v[62:63], v[84:85], v[76:77]
	;; [unrolled: 1-line block ×4, first 2 shown]
	v_fma_f64 v[66:67], v[16:17], s[0:1], v[86:87]
	v_fma_f64 v[78:79], v[16:17], s[28:29], v[18:19]
	;; [unrolled: 1-line block ×3, first 2 shown]
	v_mul_f64 v[82:83], v[22:23], s[0:1]
	v_mul_f64 v[84:85], v[4:5], s[6:7]
	v_add_f64 v[48:49], v[94:95], v[68:69]
	v_fma_f64 v[68:69], v[102:103], s[26:27], v[24:25]
	v_fma_f64 v[24:25], v[102:103], s[26:27], -v[24:25]
	v_add_f64 v[86:87], v[2:3], v[30:31]
	v_mul_f64 v[30:31], v[22:23], s[30:31]
	v_mul_f64 v[88:89], v[4:5], s[36:37]
	v_fma_f64 v[80:81], v[96:97], s[42:43], v[100:101]
	v_add_f64 v[56:57], v[58:59], v[56:57]
	v_mul_f64 v[58:59], v[22:23], s[12:13]
	v_mul_f64 v[90:91], v[4:5], s[16:17]
	v_add_f64 v[64:65], v[72:73], v[64:65]
	v_mul_f64 v[72:73], v[22:23], s[24:25]
	v_mul_f64 v[92:93], v[4:5], s[26:27]
	v_fma_f64 v[18:19], v[44:45], s[40:41], v[98:99]
	v_add_f64 v[94:95], v[14:15], v[38:39]
	v_mul_f64 v[14:15], v[22:23], s[22:23]
	v_mul_f64 v[4:5], v[4:5], s[20:21]
	v_add_f64 v[42:43], v[66:67], v[42:43]
	v_add_f64 v[66:67], v[78:79], v[36:37]
	;; [unrolled: 1-line block ×3, first 2 shown]
	v_fma_f64 v[12:13], v[44:45], s[6:7], v[82:83]
	v_fma_f64 v[16:17], v[96:97], s[2:3], v[84:85]
	v_add_f64 v[46:47], v[0:1], v[46:47]
	v_add_f64 v[34:35], v[68:69], v[34:35]
	;; [unrolled: 1-line block ×3, first 2 shown]
	v_fma_f64 v[84:85], v[96:97], s[0:1], v[84:85]
	v_fma_f64 v[20:21], v[44:45], s[36:37], v[30:31]
	;; [unrolled: 1-line block ×3, first 2 shown]
	v_add_f64 v[2:3], v[80:81], v[28:29]
	v_fma_f64 v[24:25], v[44:45], s[36:37], -v[30:31]
	v_fma_f64 v[28:29], v[44:45], s[16:17], v[58:59]
	v_fma_f64 v[30:31], v[96:97], s[14:15], v[90:91]
	v_fma_f64 v[36:37], v[44:45], s[16:17], -v[58:59]
	v_fma_f64 v[38:39], v[44:45], s[26:27], v[72:73]
	v_fma_f64 v[58:59], v[96:97], s[28:29], v[92:93]
	v_add_f64 v[0:1], v[18:19], v[6:7]
	v_fma_f64 v[18:19], v[44:45], s[6:7], -v[82:83]
	v_fma_f64 v[80:81], v[44:45], s[20:21], v[14:15]
	v_fma_f64 v[82:83], v[96:97], s[18:19], v[4:5]
	v_fma_f64 v[6:7], v[44:45], s[40:41], -v[98:99]
	v_fma_f64 v[72:73], v[44:45], s[26:27], -v[72:73]
	;; [unrolled: 1-line block ×3, first 2 shown]
	v_fma_f64 v[98:99], v[96:97], s[22:23], v[4:5]
	v_fma_f64 v[92:93], v[96:97], s[24:25], v[92:93]
	;; [unrolled: 1-line block ×5, first 2 shown]
	v_add_f64 v[12:13], v[12:13], v[26:27]
	v_add_f64 v[14:15], v[16:17], v[52:53]
	;; [unrolled: 1-line block ×10, first 2 shown]
	s_mov_b32 s0, 0x622898b1
	v_add_f64 v[16:17], v[18:19], v[54:55]
	v_add_f64 v[56:57], v[80:81], v[34:35]
	;; [unrolled: 1-line block ×12, first 2 shown]
	ds_write_b128 v255, v[8:11]
	ds_write_b128 v255, v[0:3] offset:1040
	ds_write_b128 v255, v[12:15] offset:2080
	;; [unrolled: 1-line block ×12, first 2 shown]
	s_waitcnt lgkmcnt(0)
	s_barrier
	buffer_gl0_inv
	ds_read_b128 v[0:3], v255
	ds_read_b128 v[4:7], v255 offset:1040
	s_clause 0x3
	buffer_load_dword v32, off, s[48:51], 0 offset:36
	buffer_load_dword v33, off, s[48:51], 0 offset:40
	buffer_load_dword v34, off, s[48:51], 0 offset:44
	buffer_load_dword v35, off, s[48:51], 0 offset:48
	ds_read_b128 v[8:11], v255 offset:2080
	v_mad_u64_u32 v[18:19], null, s10, v208, 0
	s_mov_b32 s1, 0x3f5363ac
	s_mul_i32 s2, s9, 0x410
	s_mul_hi_u32 s3, s8, 0x410
	s_add_i32 s2, s3, s2
	s_mul_i32 s3, s8, 0x410
	s_waitcnt vmcnt(0) lgkmcnt(2)
	v_mul_f64 v[12:13], v[34:35], v[2:3]
	v_mul_f64 v[16:17], v[34:35], v[0:1]
	s_clause 0x4
	buffer_load_dword v35, off, s[48:51], 0 offset:52
	buffer_load_dword v36, off, s[48:51], 0 offset:56
	buffer_load_dword v37, off, s[48:51], 0 offset:60
	buffer_load_dword v38, off, s[48:51], 0 offset:64
	buffer_load_dword v34, off, s[48:51], 0 offset:16
	v_fma_f64 v[20:21], v[32:33], v[0:1], v[12:13]
	ds_read_b128 v[12:15], v255 offset:3120
	v_mov_b32_e32 v0, v19
	v_fma_f64 v[16:17], v[32:33], v[2:3], -v[16:17]
	v_mad_u64_u32 v[32:33], null, s11, v208, v[0:1]
	s_waitcnt vmcnt(1) lgkmcnt(2)
	v_mul_f64 v[22:23], v[37:38], v[6:7]
	v_mul_f64 v[24:25], v[37:38], v[4:5]
	s_clause 0x3
	buffer_load_dword v37, off, s[48:51], 0 offset:116
	buffer_load_dword v38, off, s[48:51], 0 offset:120
	;; [unrolled: 1-line block ×4, first 2 shown]
	s_waitcnt vmcnt(4)
	v_mad_u64_u32 v[26:27], null, s8, v34, 0
	ds_read_b128 v[0:3], v255 offset:4160
	v_mov_b32_e32 v19, v27
	v_mad_u64_u32 v[33:34], null, s9, v34, v[19:20]
	v_mov_b32_e32 v19, v32
	v_fma_f64 v[22:23], v[35:36], v[4:5], v[22:23]
	v_mul_f64 v[4:5], v[20:21], s[0:1]
	v_mov_b32_e32 v27, v33
	v_fma_f64 v[24:25], v[35:36], v[6:7], -v[24:25]
	v_lshlrev_b64 v[18:19], 4, v[18:19]
	v_mul_f64 v[6:7], v[16:17], s[0:1]
	v_lshlrev_b64 v[16:17], 4, v[26:27]
	v_add_co_u32 v18, vcc_lo, s4, v18
	v_add_co_ci_u32_e32 v19, vcc_lo, s5, v19, vcc_lo
	v_add_co_u32 v36, vcc_lo, v18, v16
	s_waitcnt vmcnt(0) lgkmcnt(2)
	v_mul_f64 v[28:29], v[39:40], v[10:11]
	v_mul_f64 v[30:31], v[39:40], v[8:9]
	v_fma_f64 v[20:21], v[37:38], v[8:9], v[28:29]
	v_fma_f64 v[28:29], v[37:38], v[10:11], -v[30:31]
	s_clause 0x3
	buffer_load_dword v38, off, s[48:51], 0 offset:100
	buffer_load_dword v39, off, s[48:51], 0 offset:104
	;; [unrolled: 1-line block ×4, first 2 shown]
	ds_read_b128 v[8:11], v255 offset:5200
	v_add_co_ci_u32_e32 v37, vcc_lo, v19, v17, vcc_lo
	v_mul_f64 v[16:17], v[22:23], s[0:1]
	v_mul_f64 v[18:19], v[24:25], s[0:1]
	;; [unrolled: 1-line block ×4, first 2 shown]
	s_waitcnt vmcnt(0) lgkmcnt(2)
	v_mul_f64 v[30:31], v[40:41], v[14:15]
	v_mul_f64 v[32:33], v[40:41], v[12:13]
	s_clause 0x3
	buffer_load_dword v40, off, s[48:51], 0 offset:132
	buffer_load_dword v41, off, s[48:51], 0 offset:136
	;; [unrolled: 1-line block ×4, first 2 shown]
	v_fma_f64 v[24:25], v[38:39], v[12:13], v[30:31]
	v_fma_f64 v[28:29], v[38:39], v[14:15], -v[32:33]
	ds_read_b128 v[12:15], v255 offset:6240
	s_clause 0x3
	buffer_load_dword v50, off, s[48:51], 0 offset:20
	buffer_load_dword v51, off, s[48:51], 0 offset:24
	;; [unrolled: 1-line block ×4, first 2 shown]
	v_add_co_u32 v30, vcc_lo, v36, s3
	v_add_co_ci_u32_e32 v31, vcc_lo, s2, v37, vcc_lo
	global_store_dwordx4 v[36:37], v[4:7], off
	v_add_co_u32 v38, vcc_lo, v30, s3
	v_add_co_ci_u32_e32 v39, vcc_lo, s2, v31, vcc_lo
	v_add_co_u32 v48, vcc_lo, v38, s3
	v_add_co_ci_u32_e32 v49, vcc_lo, s2, v39, vcc_lo
	v_mul_f64 v[4:5], v[24:25], s[0:1]
	v_mul_f64 v[6:7], v[28:29], s[0:1]
	s_waitcnt vmcnt(4) lgkmcnt(2)
	v_mul_f64 v[26:27], v[42:43], v[2:3]
	v_mul_f64 v[34:35], v[42:43], v[0:1]
	v_fma_f64 v[32:33], v[40:41], v[0:1], v[26:27]
	v_fma_f64 v[34:35], v[40:41], v[2:3], -v[34:35]
	ds_read_b128 v[0:3], v255 offset:7280
	global_store_dwordx4 v[30:31], v[16:19], off
	global_store_dwordx4 v[38:39], v[20:23], off
	s_clause 0x3
	buffer_load_dword v56, off, s[48:51], 0 offset:68
	buffer_load_dword v57, off, s[48:51], 0 offset:72
	;; [unrolled: 1-line block ×4, first 2 shown]
	ds_read_b128 v[16:19], v255 offset:8320
	ds_read_b128 v[20:23], v255 offset:9360
	;; [unrolled: 1-line block ×5, first 2 shown]
	s_clause 0x3
	buffer_load_dword v68, off, s[48:51], 0 offset:84
	buffer_load_dword v69, off, s[48:51], 0 offset:88
	;; [unrolled: 1-line block ×4, first 2 shown]
	s_waitcnt vmcnt(8) lgkmcnt(7)
	v_mul_f64 v[40:41], v[52:53], v[10:11]
	v_mul_f64 v[42:43], v[52:53], v[8:9]
	;; [unrolled: 1-line block ×4, first 2 shown]
	v_fma_f64 v[8:9], v[50:51], v[8:9], v[40:41]
	v_fma_f64 v[10:11], v[50:51], v[10:11], -v[42:43]
	v_add_co_u32 v50, vcc_lo, v48, s3
	v_add_co_ci_u32_e32 v51, vcc_lo, s2, v49, vcc_lo
	s_waitcnt vmcnt(4) lgkmcnt(6)
	v_mul_f64 v[44:45], v[58:59], v[14:15]
	v_mul_f64 v[46:47], v[58:59], v[12:13]
	s_waitcnt vmcnt(0) lgkmcnt(5)
	v_mul_f64 v[40:41], v[70:71], v[2:3]
	v_mul_f64 v[42:43], v[70:71], v[0:1]
	s_clause 0x3
	buffer_load_dword v70, off, s[48:51], 0 offset:148
	buffer_load_dword v71, off, s[48:51], 0 offset:152
	buffer_load_dword v72, off, s[48:51], 0 offset:156
	buffer_load_dword v73, off, s[48:51], 0 offset:160
	v_fma_f64 v[12:13], v[56:57], v[12:13], v[44:45]
	v_fma_f64 v[14:15], v[56:57], v[14:15], -v[46:47]
	s_waitcnt vmcnt(0) lgkmcnt(4)
	v_mul_f64 v[52:53], v[72:73], v[18:19]
	v_mul_f64 v[54:55], v[72:73], v[16:17]
	s_clause 0x3
	buffer_load_dword v72, off, s[48:51], 0 offset:164
	buffer_load_dword v73, off, s[48:51], 0 offset:168
	buffer_load_dword v74, off, s[48:51], 0 offset:172
	buffer_load_dword v75, off, s[48:51], 0 offset:176
	v_fma_f64 v[16:17], v[70:71], v[16:17], v[52:53]
	v_fma_f64 v[18:19], v[70:71], v[18:19], -v[54:55]
	;; [unrolled: 10-line block ×4, first 2 shown]
	s_waitcnt vmcnt(0) lgkmcnt(1)
	v_mul_f64 v[60:61], v[78:79], v[30:31]
	v_mul_f64 v[62:63], v[78:79], v[28:29]
	s_clause 0x3
	buffer_load_dword v78, off, s[48:51], 0 offset:212
	buffer_load_dword v79, off, s[48:51], 0 offset:216
	;; [unrolled: 1-line block ×4, first 2 shown]
	global_store_dwordx4 v[48:49], v[4:7], off
	global_store_dwordx4 v[50:51], v[32:35], off
	v_mul_f64 v[4:5], v[8:9], s[0:1]
	v_mul_f64 v[6:7], v[10:11], s[0:1]
	v_fma_f64 v[8:9], v[68:69], v[0:1], v[40:41]
	v_fma_f64 v[10:11], v[68:69], v[2:3], -v[42:43]
	v_add_co_u32 v32, vcc_lo, v50, s3
	v_add_co_ci_u32_e32 v33, vcc_lo, s2, v51, vcc_lo
	v_mul_f64 v[0:1], v[12:13], s[0:1]
	v_mul_f64 v[2:3], v[14:15], s[0:1]
	;; [unrolled: 1-line block ×8, first 2 shown]
	v_fma_f64 v[28:29], v[76:77], v[28:29], v[60:61]
	v_fma_f64 v[30:31], v[76:77], v[30:31], -v[62:63]
	global_store_dwordx4 v[32:33], v[4:7], off
	v_mul_f64 v[8:9], v[8:9], s[0:1]
	v_mul_f64 v[10:11], v[10:11], s[0:1]
	;; [unrolled: 1-line block ×4, first 2 shown]
	s_waitcnt vmcnt(0) lgkmcnt(0)
	v_mul_f64 v[64:65], v[80:81], v[38:39]
	v_mul_f64 v[66:67], v[80:81], v[36:37]
	v_fma_f64 v[34:35], v[78:79], v[36:37], v[64:65]
	v_fma_f64 v[36:37], v[78:79], v[38:39], -v[66:67]
	v_add_co_u32 v38, vcc_lo, v32, s3
	v_add_co_ci_u32_e32 v39, vcc_lo, s2, v33, vcc_lo
	v_add_co_u32 v40, vcc_lo, v38, s3
	v_add_co_ci_u32_e32 v41, vcc_lo, s2, v39, vcc_lo
	global_store_dwordx4 v[38:39], v[0:3], off
	v_add_co_u32 v42, vcc_lo, v40, s3
	v_add_co_ci_u32_e32 v43, vcc_lo, s2, v41, vcc_lo
	global_store_dwordx4 v[40:41], v[8:11], off
	v_mul_f64 v[28:29], v[34:35], s[0:1]
	v_mul_f64 v[30:31], v[36:37], s[0:1]
	v_add_co_u32 v34, vcc_lo, v42, s3
	v_add_co_ci_u32_e32 v35, vcc_lo, s2, v43, vcc_lo
	v_add_co_u32 v4, vcc_lo, v34, s3
	v_add_co_ci_u32_e32 v5, vcc_lo, s2, v35, vcc_lo
	;; [unrolled: 2-line block ×4, first 2 shown]
	global_store_dwordx4 v[42:43], v[12:15], off
	global_store_dwordx4 v[34:35], v[16:19], off
	;; [unrolled: 1-line block ×5, first 2 shown]
.LBB0_10:
	s_endpgm
	.section	.rodata,"a",@progbits
	.p2align	6, 0x0
	.amdhsa_kernel bluestein_single_fwd_len845_dim1_dp_op_CI_CI
		.amdhsa_group_segment_fixed_size 40560
		.amdhsa_private_segment_fixed_size 296
		.amdhsa_kernarg_size 104
		.amdhsa_user_sgpr_count 6
		.amdhsa_user_sgpr_private_segment_buffer 1
		.amdhsa_user_sgpr_dispatch_ptr 0
		.amdhsa_user_sgpr_queue_ptr 0
		.amdhsa_user_sgpr_kernarg_segment_ptr 1
		.amdhsa_user_sgpr_dispatch_id 0
		.amdhsa_user_sgpr_flat_scratch_init 0
		.amdhsa_user_sgpr_private_segment_size 0
		.amdhsa_wavefront_size32 1
		.amdhsa_uses_dynamic_stack 0
		.amdhsa_system_sgpr_private_segment_wavefront_offset 1
		.amdhsa_system_sgpr_workgroup_id_x 1
		.amdhsa_system_sgpr_workgroup_id_y 0
		.amdhsa_system_sgpr_workgroup_id_z 0
		.amdhsa_system_sgpr_workgroup_info 0
		.amdhsa_system_vgpr_workitem_id 0
		.amdhsa_next_free_vgpr 256
		.amdhsa_next_free_sgpr 52
		.amdhsa_reserve_vcc 1
		.amdhsa_reserve_flat_scratch 0
		.amdhsa_float_round_mode_32 0
		.amdhsa_float_round_mode_16_64 0
		.amdhsa_float_denorm_mode_32 3
		.amdhsa_float_denorm_mode_16_64 3
		.amdhsa_dx10_clamp 1
		.amdhsa_ieee_mode 1
		.amdhsa_fp16_overflow 0
		.amdhsa_workgroup_processor_mode 1
		.amdhsa_memory_ordered 1
		.amdhsa_forward_progress 0
		.amdhsa_shared_vgpr_count 0
		.amdhsa_exception_fp_ieee_invalid_op 0
		.amdhsa_exception_fp_denorm_src 0
		.amdhsa_exception_fp_ieee_div_zero 0
		.amdhsa_exception_fp_ieee_overflow 0
		.amdhsa_exception_fp_ieee_underflow 0
		.amdhsa_exception_fp_ieee_inexact 0
		.amdhsa_exception_int_div_zero 0
	.end_amdhsa_kernel
	.text
.Lfunc_end0:
	.size	bluestein_single_fwd_len845_dim1_dp_op_CI_CI, .Lfunc_end0-bluestein_single_fwd_len845_dim1_dp_op_CI_CI
                                        ; -- End function
	.section	.AMDGPU.csdata,"",@progbits
; Kernel info:
; codeLenInByte = 25440
; NumSgprs: 54
; NumVgprs: 256
; ScratchSize: 296
; MemoryBound: 0
; FloatMode: 240
; IeeeMode: 1
; LDSByteSize: 40560 bytes/workgroup (compile time only)
; SGPRBlocks: 6
; VGPRBlocks: 31
; NumSGPRsForWavesPerEU: 54
; NumVGPRsForWavesPerEU: 256
; Occupancy: 4
; WaveLimiterHint : 1
; COMPUTE_PGM_RSRC2:SCRATCH_EN: 1
; COMPUTE_PGM_RSRC2:USER_SGPR: 6
; COMPUTE_PGM_RSRC2:TRAP_HANDLER: 0
; COMPUTE_PGM_RSRC2:TGID_X_EN: 1
; COMPUTE_PGM_RSRC2:TGID_Y_EN: 0
; COMPUTE_PGM_RSRC2:TGID_Z_EN: 0
; COMPUTE_PGM_RSRC2:TIDIG_COMP_CNT: 0
	.text
	.p2alignl 6, 3214868480
	.fill 48, 4, 3214868480
	.type	__hip_cuid_db839e82a7b20cb3,@object ; @__hip_cuid_db839e82a7b20cb3
	.section	.bss,"aw",@nobits
	.globl	__hip_cuid_db839e82a7b20cb3
__hip_cuid_db839e82a7b20cb3:
	.byte	0                               ; 0x0
	.size	__hip_cuid_db839e82a7b20cb3, 1

	.ident	"AMD clang version 19.0.0git (https://github.com/RadeonOpenCompute/llvm-project roc-6.4.0 25133 c7fe45cf4b819c5991fe208aaa96edf142730f1d)"
	.section	".note.GNU-stack","",@progbits
	.addrsig
	.addrsig_sym __hip_cuid_db839e82a7b20cb3
	.amdgpu_metadata
---
amdhsa.kernels:
  - .args:
      - .actual_access:  read_only
        .address_space:  global
        .offset:         0
        .size:           8
        .value_kind:     global_buffer
      - .actual_access:  read_only
        .address_space:  global
        .offset:         8
        .size:           8
        .value_kind:     global_buffer
      - .actual_access:  read_only
        .address_space:  global
        .offset:         16
        .size:           8
        .value_kind:     global_buffer
      - .actual_access:  read_only
        .address_space:  global
        .offset:         24
        .size:           8
        .value_kind:     global_buffer
      - .actual_access:  read_only
        .address_space:  global
        .offset:         32
        .size:           8
        .value_kind:     global_buffer
      - .offset:         40
        .size:           8
        .value_kind:     by_value
      - .address_space:  global
        .offset:         48
        .size:           8
        .value_kind:     global_buffer
      - .address_space:  global
        .offset:         56
        .size:           8
        .value_kind:     global_buffer
      - .address_space:  global
        .offset:         64
        .size:           8
        .value_kind:     global_buffer
      - .address_space:  global
        .offset:         72
        .size:           8
        .value_kind:     global_buffer
      - .offset:         80
        .size:           4
        .value_kind:     by_value
      - .address_space:  global
        .offset:         88
        .size:           8
        .value_kind:     global_buffer
      - .address_space:  global
        .offset:         96
        .size:           8
        .value_kind:     global_buffer
    .group_segment_fixed_size: 40560
    .kernarg_segment_align: 8
    .kernarg_segment_size: 104
    .language:       OpenCL C
    .language_version:
      - 2
      - 0
    .max_flat_workgroup_size: 195
    .name:           bluestein_single_fwd_len845_dim1_dp_op_CI_CI
    .private_segment_fixed_size: 296
    .sgpr_count:     54
    .sgpr_spill_count: 0
    .symbol:         bluestein_single_fwd_len845_dim1_dp_op_CI_CI.kd
    .uniform_work_group_size: 1
    .uses_dynamic_stack: false
    .vgpr_count:     256
    .vgpr_spill_count: 77
    .wavefront_size: 32
    .workgroup_processor_mode: 1
amdhsa.target:   amdgcn-amd-amdhsa--gfx1030
amdhsa.version:
  - 1
  - 2
...

	.end_amdgpu_metadata
